;; amdgpu-corpus repo=ROCm/aiter kind=harvested arch=n/a opt=n/a

/root/src/amdgpu-assembly/repos/ROCm__aiter/hsa/gfx942/topksoftmax/topksoftmax_12x256x6_bf16.co:	file format elf64-amdgpu

Disassembly of section .text:

0000000000001c00 <_ZN5aiter25topksoftmax_12x256x6_bf16E>:
	s_and_b32 s1, s1, 0xffff                                   // 000000001C00: 8601FF01 0000FFFF
	s_load_dwordx2 s[4:5], s[0:1], 0x0                         // 000000001C08: C0060100 00000000
	s_load_dwordx2 s[8:9], s[0:1], 0x10                        // 000000001C10: C0060200 00000010
	s_load_dwordx2 s[12:13], s[0:1], 0x20                      // 000000001C18: C0060300 00000020
	s_load_dword s16, s[0:1], 0x30                             // 000000001C20: C0020400 00000030
	s_load_dword s17, s[0:1], 0x40                             // 000000001C28: C0020440 00000040
	s_load_dword s18, s[0:1], 0x50                             // 000000001C30: C0020480 00000050
	s_load_dword s92, s[0:1], 0x60                             // 000000001C38: C0021700 00000060
	s_load_dword s93, s[0:1], 0x70                             // 000000001C40: C0021740 00000070
	v_lshrrev_b32_e32 v1, 10, v0                               // 000000001C48: 2002008A
	v_lshrrev_b32_e32 v2, 10, v1                               // 000000001C4C: 2004028A
	v_and_b32_e32 v2, 0x3ff, v2                                // 000000001C50: 260404FF 000003FF
	v_and_b32_e32 v1, 0x3ff, v1                                // 000000001C58: 260202FF 000003FF
	v_and_b32_e32 v0, 0x3ff, v0                                // 000000001C60: 260000FF 000003FF
	v_lshrrev_b32_e32 v3, 6, v0                                // 000000001C68: 20060086
	v_and_b32_e32 v0, 63, v0                                   // 000000001C6C: 260000BF
	s_mov_b32 s19, s2                                          // 000000001C70: BE930002
	v_readfirstlane_b32 s90, v3                                // 000000001C74: 7EB40503
	s_waitcnt lgkmcnt(0)                                       // 000000001C78: BF8CC07F
	s_mov_b32 s6, -16                                          // 000000001C7C: BE8600D0
	s_mov_b32 s10, -16                                         // 000000001C80: BE8A00D0
	s_mov_b32 s14, -16                                         // 000000001C84: BE8E00D0
	s_mov_b32 s7, 0x20000                                      // 000000001C88: BE8700FF 00020000
	s_mov_b32 s11, 0x20000                                     // 000000001C90: BE8B00FF 00020000
	s_mov_b32 s15, 0x20000                                     // 000000001C98: BE8F00FF 00020000
	s_and_b32 s5, s5, 0xffff                                   // 000000001CA0: 8605FF05 0000FFFF
	s_and_b32 s9, s9, 0xffff                                   // 000000001CA8: 8609FF09 0000FFFF
	s_and_b32 s13, s13, 0xffff                                 // 000000001CB0: 860DFF0D 0000FFFF
	s_or_b32 s5, s5, 0x40000                                   // 000000001CB8: 8705FF05 00040000
	s_or_b32 s9, s9, 0x40000                                   // 000000001CC0: 8709FF09 00040000
	s_or_b32 s13, s13, 0x40000                                 // 000000001CC8: 870DFF0D 00040000
	s_mul_i32 s20, s16, s17                                    // 000000001CD0: 92141110
	s_mul_i32 s20, s20, 2                                      // 000000001CD4: 92148214
	s_mov_b32 s14, s20                                         // 000000001CD8: BE8E0014
	v_lshlrev_b32_e32 v8, 1, v0                                // 000000001CDC: 24100081
	s_mul_i32 s20, s17, 2                                      // 000000001CE0: 92148211
	s_mul_i32 s21, s19, 12                                     // 000000001CE4: 92158C13
	s_add_i32 s21, s21, s90                                    // 000000001CE8: 81155A15
	s_mul_i32 s22, s20, s21                                    // 000000001CEC: 92161514
	v_add_u32_e32 v8, s22, v8                                  // 000000001CF0: 68101016
	s_mul_i32 s23, s20, 4                                      // 000000001CF4: 92178414
	v_add_u32_e32 v9, s23, v8                                  // 000000001CF8: 68121017
	v_add_u32_e32 v10, s23, v9                                 // 000000001CFC: 68141217
	buffer_load_short_d16 v17, v8, s[12:15], 0 offen           // 000000001D00: E0901000 80031108
	buffer_load_short_d16 v18, v8, s[12:15], 0 offen offset:128// 000000001D08: E0901080 80031208
	buffer_load_short_d16 v19, v8, s[12:15], 0 offen offset:256// 000000001D10: E0901100 80031308
	buffer_load_short_d16 v20, v8, s[12:15], 0 offen offset:384// 000000001D18: E0901180 80031408
	buffer_load_short_d16 v21, v9, s[12:15], 0 offen           // 000000001D20: E0901000 80031509
	buffer_load_short_d16 v22, v9, s[12:15], 0 offen offset:128// 000000001D28: E0901080 80031609
	buffer_load_short_d16 v23, v9, s[12:15], 0 offen offset:256// 000000001D30: E0901100 80031709
	buffer_load_short_d16 v24, v9, s[12:15], 0 offen offset:384// 000000001D38: E0901180 80031809
	buffer_load_short_d16 v25, v10, s[12:15], 0 offen          // 000000001D40: E0901000 8003190A
	buffer_load_short_d16 v26, v10, s[12:15], 0 offen offset:128// 000000001D48: E0901080 80031A0A
	buffer_load_short_d16 v27, v10, s[12:15], 0 offen offset:256// 000000001D50: E0901100 80031B0A
	buffer_load_short_d16 v28, v10, s[12:15], 0 offen offset:384// 000000001D58: E0901180 80031C0A
	v_mov_b32_e32 v35, 0                                       // 000000001D60: 7E460280
	v_mov_b32_e32 v36, 0                                       // 000000001D64: 7E480280
	v_mov_b32_e32 v37, 0                                       // 000000001D68: 7E4A0280
	v_mov_b32_e32 v38, 0                                       // 000000001D6C: 7E4C0280
	v_mov_b32_e32 v39, 0                                       // 000000001D70: 7E4E0280
	v_mov_b32_e32 v40, 0                                       // 000000001D74: 7E500280
	v_mov_b32_e32 v41, 0                                       // 000000001D78: 7E520280
	v_mov_b32_e32 v42, 0                                       // 000000001D7C: 7E540280
	v_mov_b32_e32 v43, 0                                       // 000000001D80: 7E560280
	v_mov_b32_e32 v44, 0                                       // 000000001D84: 7E580280
	v_mov_b32_e32 v45, 0                                       // 000000001D88: 7E5A0280
	v_mov_b32_e32 v46, 0                                       // 000000001D8C: 7E5C0280
	v_mov_b32_e32 v29, 0                                       // 000000001D90: 7E3A0280
	v_mov_b32_e32 v30, 0                                       // 000000001D94: 7E3C0280
	v_mov_b32_e32 v31, 0                                       // 000000001D98: 7E3E0280
	v_mov_b32_e32 v32, 0                                       // 000000001D9C: 7E400280
	v_mov_b32_e32 v33, 0                                       // 000000001DA0: 7E420280
	v_mov_b32_e32 v34, 0                                       // 000000001DA4: 7E440280
	v_mov_b32_e32 v47, 0                                       // 000000001DA8: 7E5E0280
	v_mov_b32_e32 v48, 0                                       // 000000001DAC: 7E600280
	v_mov_b32_e32 v49, 0                                       // 000000001DB0: 7E620280
	s_mov_b32 s18, 6                                           // 000000001DB4: BE920086
	v_lshlrev_b32_e32 v11, 2, v0                               // 000000001DB8: 24160082
	s_mov_b32 s20, s93                                         // 000000001DBC: BE94005D
	s_mul_i32 s21, s19, 12                                     // 000000001DC0: 92158C13
	s_add_i32 s21, s21, s90                                    // 000000001DC4: 81155A15
	s_mul_i32 s22, s20, s21                                    // 000000001DC8: 92161514
	v_add_u32_e32 v11, s22, v11                                // 000000001DCC: 68161616
	s_mul_i32 s23, s20, 4                                      // 000000001DD0: 92178414
	v_add_u32_e32 v12, s23, v11                                // 000000001DD4: 68181617
	v_add_u32_e32 v13, s23, v12                                // 000000001DD8: 681A1817
	v_mov_b32_e32 v14, v11                                     // 000000001DDC: 7E1C030B
	v_mov_b32_e32 v15, v12                                     // 000000001DE0: 7E1E030C
	v_mov_b32_e32 v16, v13                                     // 000000001DE4: 7E20030D
	s_mul_i32 s20, s16, s93                                    // 000000001DE8: 92145D10
	s_mov_b32 s6, s20                                          // 000000001DEC: BE860014
	s_mov_b32 s10, s20                                         // 000000001DF0: BE8A0014
	s_mov_b32 s91, 0x3fb8aa3b                                  // 000000001DF4: BEDB00FF 3FB8AA3B
	s_mov_b32 s72, 0                                           // 000000001DFC: BEC80080
	s_mov_b32 s73, 0                                           // 000000001E00: BEC90080
	s_mov_b32 s74, 0                                           // 000000001E04: BECA0080
	s_mov_b32 s75, 0                                           // 000000001E08: BECB0080
	s_mov_b32 s76, 0                                           // 000000001E0C: BECC0080
	s_mov_b32 s77, 0                                           // 000000001E10: BECD0080
	s_mov_b32 s78, 0                                           // 000000001E14: BECE0080
	s_mov_b32 s79, 0                                           // 000000001E18: BECF0080
	s_mov_b32 s80, 0                                           // 000000001E1C: BED00080
	s_mov_b32 s81, 0                                           // 000000001E20: BED10080
	s_mov_b32 s82, 0                                           // 000000001E24: BED20080
	s_mov_b32 s83, 0                                           // 000000001E28: BED30080
	s_mov_b32 s84, 0                                           // 000000001E2C: BED40080
	s_mov_b32 s85, 0                                           // 000000001E30: BED50080
	s_mov_b32 s86, 0                                           // 000000001E34: BED60080
	s_mov_b32 s87, 0                                           // 000000001E38: BED70080
	s_mov_b32 s88, 0                                           // 000000001E3C: BED80080
	s_mov_b32 s89, 0                                           // 000000001E40: BED90080
	s_waitcnt vmcnt(0) expcnt(0) lgkmcnt(0)                    // 000000001E44: BF8C0000
	v_lshlrev_b32_e32 v17, 16, v17                             // 000000001E48: 24222290
	v_lshlrev_b32_e32 v18, 16, v18                             // 000000001E4C: 24242490
	v_lshlrev_b32_e32 v19, 16, v19                             // 000000001E50: 24262690
	v_lshlrev_b32_e32 v20, 16, v20                             // 000000001E54: 24282890
	v_lshlrev_b32_e32 v21, 16, v21                             // 000000001E58: 242A2A90
	v_lshlrev_b32_e32 v22, 16, v22                             // 000000001E5C: 242C2C90
	v_lshlrev_b32_e32 v23, 16, v23                             // 000000001E60: 242E2E90
	v_lshlrev_b32_e32 v24, 16, v24                             // 000000001E64: 24303090
	v_lshlrev_b32_e32 v25, 16, v25                             // 000000001E68: 24323290
	v_lshlrev_b32_e32 v26, 16, v26                             // 000000001E6C: 24343490
	v_lshlrev_b32_e32 v27, 16, v27                             // 000000001E70: 24363690
	v_lshlrev_b32_e32 v28, 16, v28                             // 000000001E74: 24383890
	v_mul_f32_e64 v17, v17, s91                                // 000000001E78: D1050011 0000B711
	v_exp_f32_e32 v17, v17                                     // 000000001E80: 7E224111
	v_mul_f32_e64 v18, v18, s91                                // 000000001E84: D1050012 0000B712
	v_exp_f32_e32 v18, v18                                     // 000000001E8C: 7E244112
	v_mul_f32_e64 v19, v19, s91                                // 000000001E90: D1050013 0000B713
	v_exp_f32_e32 v19, v19                                     // 000000001E98: 7E264113
	v_mul_f32_e64 v20, v20, s91                                // 000000001E9C: D1050014 0000B714
	v_exp_f32_e32 v20, v20                                     // 000000001EA4: 7E284114
	v_mul_f32_e64 v21, v21, s91                                // 000000001EA8: D1050015 0000B715
	v_exp_f32_e32 v21, v21                                     // 000000001EB0: 7E2A4115
	v_mul_f32_e64 v22, v22, s91                                // 000000001EB4: D1050016 0000B716
	v_exp_f32_e32 v22, v22                                     // 000000001EBC: 7E2C4116
	v_mul_f32_e64 v23, v23, s91                                // 000000001EC0: D1050017 0000B717
	v_exp_f32_e32 v23, v23                                     // 000000001EC8: 7E2E4117
	v_mul_f32_e64 v24, v24, s91                                // 000000001ECC: D1050018 0000B718
	v_exp_f32_e32 v24, v24                                     // 000000001ED4: 7E304118
	v_mul_f32_e64 v25, v25, s91                                // 000000001ED8: D1050019 0000B719
	v_exp_f32_e32 v25, v25                                     // 000000001EE0: 7E324119
	v_mul_f32_e64 v26, v26, s91                                // 000000001EE4: D105001A 0000B71A
	v_exp_f32_e32 v26, v26                                     // 000000001EEC: 7E34411A
	v_mul_f32_e64 v27, v27, s91                                // 000000001EF0: D105001B 0000B71B
	v_exp_f32_e32 v27, v27                                     // 000000001EF8: 7E36411B
	v_mul_f32_e64 v28, v28, s91                                // 000000001EFC: D105001C 0000B71C
	v_exp_f32_e32 v28, v28                                     // 000000001F04: 7E38411C
	v_add_f32_e32 v35, v35, v17                                // 000000001F08: 02462323
	v_add_f32_e32 v35, v35, v18                                // 000000001F0C: 02462523
	v_add_f32_e32 v35, v35, v19                                // 000000001F10: 02462723
	v_add_f32_e32 v35, v35, v20                                // 000000001F14: 02462923
	v_add_f32_e32 v37, v37, v21                                // 000000001F18: 024A2B25
	v_add_f32_e32 v37, v37, v22                                // 000000001F1C: 024A2D25
	v_add_f32_e32 v37, v37, v23                                // 000000001F20: 024A2F25
	v_add_f32_e32 v37, v37, v24                                // 000000001F24: 024A3125
	v_add_f32_e32 v39, v39, v25                                // 000000001F28: 024E3327
	v_add_f32_e32 v39, v39, v26                                // 000000001F2C: 024E3527
	v_add_f32_e32 v39, v39, v27                                // 000000001F30: 024E3727
	v_add_f32_e32 v39, v39, v28                                // 000000001F34: 024E3927
	v_add_f32_dpp v4, v35, v35 quad_perm:[1,0,3,2] row_mask:0xf bank_mask:0xf// 000000001F38: 020846FA FF00B123
	v_add_f32_dpp v5, v37, v37 quad_perm:[1,0,3,2] row_mask:0xf bank_mask:0xf// 000000001F40: 020A4AFA FF00B125
	v_add_f32_dpp v6, v39, v39 quad_perm:[1,0,3,2] row_mask:0xf bank_mask:0xf// 000000001F48: 020C4EFA FF00B127
	v_add_f32_dpp v4, v4, v4 quad_perm:[2,3,0,1] row_mask:0xf bank_mask:0xf// 000000001F50: 020808FA FF004E04
	v_add_f32_dpp v5, v5, v5 quad_perm:[2,3,0,1] row_mask:0xf bank_mask:0xf// 000000001F58: 020A0AFA FF004E05
	v_add_f32_dpp v6, v6, v6 quad_perm:[2,3,0,1] row_mask:0xf bank_mask:0xf// 000000001F60: 020C0CFA FF004E06
	v_add_f32_dpp v4, v4, v4 row_shr:4 row_mask:0xf bank_mask:0xf// 000000001F68: 020808FA FF011404
	v_add_f32_dpp v5, v5, v5 row_shr:4 row_mask:0xf bank_mask:0xf// 000000001F70: 020A0AFA FF011405
	v_add_f32_dpp v6, v6, v6 row_shr:4 row_mask:0xf bank_mask:0xf// 000000001F78: 020C0CFA FF011406
	v_add_f32_dpp v4, v4, v4 row_shr:8 row_mask:0xf bank_mask:0xf// 000000001F80: 020808FA FF011804
	v_add_f32_dpp v5, v5, v5 row_shr:8 row_mask:0xf bank_mask:0xf// 000000001F88: 020A0AFA FF011805
	v_add_f32_dpp v6, v6, v6 row_shr:8 row_mask:0xf bank_mask:0xf// 000000001F90: 020C0CFA FF011806
	v_add_f32_dpp v4, v4, v4 row_bcast:15 row_mask:0xf bank_mask:0xf// 000000001F98: 020808FA FF014204
	v_add_f32_dpp v5, v5, v5 row_bcast:15 row_mask:0xf bank_mask:0xf// 000000001FA0: 020A0AFA FF014205
	v_add_f32_dpp v6, v6, v6 row_bcast:15 row_mask:0xf bank_mask:0xf// 000000001FA8: 020C0CFA FF014206
	v_add_f32_dpp v4, v4, v4 row_bcast:31 row_mask:0xf bank_mask:0xf// 000000001FB0: 020808FA FF014304
	v_add_f32_dpp v5, v5, v5 row_bcast:31 row_mask:0xf bank_mask:0xf// 000000001FB8: 020A0AFA FF014305
	v_add_f32_dpp v6, v6, v6 row_bcast:31 row_mask:0xf bank_mask:0xf// 000000001FC0: 020C0CFA FF014306
	v_readlane_b32 s20, v4, 63                                 // 000000001FC8: D2890014 00017F04
	v_mov_b32_e32 v36, s20                                     // 000000001FD0: 7E480214
	v_readlane_b32 s21, v5, 63                                 // 000000001FD4: D2890015 00017F05
	v_mov_b32_e32 v38, s21                                     // 000000001FDC: 7E4C0215
	v_readlane_b32 s22, v6, 63                                 // 000000001FE0: D2890016 00017F06
	v_mov_b32_e32 v40, s22                                     // 000000001FE8: 7E500216
	v_rcp_f32_e32 v35, v36                                     // 000000001FEC: 7E464524
	v_rcp_f32_e32 v37, v38                                     // 000000001FF0: 7E4A4526
	v_rcp_f32_e32 v39, v40                                     // 000000001FF4: 7E4E4528
	v_mul_f32_e32 v17, v17, v35                                // 000000001FF8: 0A224711
	v_mul_f32_e32 v18, v18, v35                                // 000000001FFC: 0A244712
	v_mul_f32_e32 v19, v19, v35                                // 000000002000: 0A264713
	v_mul_f32_e32 v20, v20, v35                                // 000000002004: 0A284714
	v_mul_f32_e32 v21, v21, v37                                // 000000002008: 0A2A4B15
	v_mul_f32_e32 v22, v22, v37                                // 00000000200C: 0A2C4B16
	v_mul_f32_e32 v23, v23, v37                                // 000000002010: 0A2E4B17
	v_mul_f32_e32 v24, v24, v37                                // 000000002014: 0A304B18
	v_mul_f32_e32 v25, v25, v39                                // 000000002018: 0A324F19
	v_mul_f32_e32 v26, v26, v39                                // 00000000201C: 0A344F1A
	v_mul_f32_e32 v27, v27, v39                                // 000000002020: 0A364F1B
	v_mul_f32_e32 v28, v28, v39                                // 000000002024: 0A384F1C
	s_cmp_eq_u32 s92, 0                                        // 000000002028: BF06805C
	s_cbranch_scc0 label_0576                                  // 00000000202C: BF84046A
	v_max_f32_e32 v41, v17, v18                                // 000000002030: 16522511
	v_max3_f32 v41, v41, v19, v20                              // 000000002034: D1D30029 04522729
	v_max_f32_e32 v42, v21, v22                                // 00000000203C: 16542D15
	v_max3_f32 v42, v42, v23, v24                              // 000000002040: D1D3002A 04622F2A
	v_max_f32_e32 v43, v25, v26                                // 000000002048: 16563519
	v_max3_f32 v43, v43, v27, v28                              // 00000000204C: D1D3002B 0472372B
	v_max_f32_dpp v4, v41, v41 quad_perm:[1,0,3,2] row_mask:0xf bank_mask:0xf// 000000002054: 160852FA FF00B129
	v_max_f32_dpp v5, v42, v42 quad_perm:[1,0,3,2] row_mask:0xf bank_mask:0xf// 00000000205C: 160A54FA FF00B12A
	v_max_f32_dpp v6, v43, v43 quad_perm:[1,0,3,2] row_mask:0xf bank_mask:0xf// 000000002064: 160C56FA FF00B12B
	v_max_f32_dpp v4, v4, v4 quad_perm:[2,3,0,1] row_mask:0xf bank_mask:0xf// 00000000206C: 160808FA FF004E04
	v_max_f32_dpp v5, v5, v5 quad_perm:[2,3,0,1] row_mask:0xf bank_mask:0xf// 000000002074: 160A0AFA FF004E05
	v_max_f32_dpp v6, v6, v6 quad_perm:[2,3,0,1] row_mask:0xf bank_mask:0xf// 00000000207C: 160C0CFA FF004E06
	v_max_f32_dpp v4, v4, v4 row_shr:4 row_mask:0xf bank_mask:0xf// 000000002084: 160808FA FF011404
	v_max_f32_dpp v5, v5, v5 row_shr:4 row_mask:0xf bank_mask:0xf// 00000000208C: 160A0AFA FF011405
	v_max_f32_dpp v6, v6, v6 row_shr:4 row_mask:0xf bank_mask:0xf// 000000002094: 160C0CFA FF011406
	v_max_f32_dpp v4, v4, v4 row_shr:8 row_mask:0xf bank_mask:0xf// 00000000209C: 160808FA FF011804
	v_max_f32_dpp v5, v5, v5 row_shr:8 row_mask:0xf bank_mask:0xf// 0000000020A4: 160A0AFA FF011805
	v_max_f32_dpp v6, v6, v6 row_shr:8 row_mask:0xf bank_mask:0xf// 0000000020AC: 160C0CFA FF011806
	v_max_f32_dpp v4, v4, v4 row_bcast:15 row_mask:0xf bank_mask:0xf// 0000000020B4: 160808FA FF014204
	v_max_f32_dpp v5, v5, v5 row_bcast:15 row_mask:0xf bank_mask:0xf// 0000000020BC: 160A0AFA FF014205
	v_max_f32_dpp v6, v6, v6 row_bcast:15 row_mask:0xf bank_mask:0xf// 0000000020C4: 160C0CFA FF014206
	v_max_f32_dpp v4, v4, v4 row_bcast:31 row_mask:0xf bank_mask:0xf// 0000000020CC: 160808FA FF014304
	v_max_f32_dpp v5, v5, v5 row_bcast:31 row_mask:0xf bank_mask:0xf// 0000000020D4: 160A0AFA FF014305
	v_max_f32_dpp v6, v6, v6 row_bcast:31 row_mask:0xf bank_mask:0xf// 0000000020DC: 160C0CFA FF014306
	v_readlane_b32 s20, v4, 63                                 // 0000000020E4: D2890014 00017F04
	v_mov_b32_e32 v41, s20                                     // 0000000020EC: 7E520214
	v_readlane_b32 s21, v5, 63                                 // 0000000020F0: D2890015 00017F05
	v_mov_b32_e32 v42, s21                                     // 0000000020F8: 7E540215
	v_readlane_b32 s22, v6, 63                                 // 0000000020FC: D2890016 00017F06
	v_mov_b32_e32 v43, s22                                     // 000000002104: 7E560216
	v_cmp_eq_f32_e64 s[24:25], v41, v17                        // 000000002108: D0420018 00022329
	v_cmp_eq_f32_e64 s[26:27], v41, v18                        // 000000002110: D042001A 00022529
	v_cmp_eq_f32_e64 s[28:29], v41, v19                        // 000000002118: D042001C 00022729
	v_cmp_eq_f32_e64 s[30:31], v41, v20                        // 000000002120: D042001E 00022929
	s_ff1_i32_b64 s48, s[24:25]                                // 000000002128: BEB01118
	s_ff1_i32_b64 s49, s[26:27]                                // 00000000212C: BEB1111A
	s_ff1_i32_b64 s50, s[28:29]                                // 000000002130: BEB2111C
	s_ff1_i32_b64 s51, s[30:31]                                // 000000002134: BEB3111E
	v_cmp_eq_f32_e64 s[32:33], v42, v21                        // 000000002138: D0420020 00022B2A
	v_cmp_eq_f32_e64 s[34:35], v42, v22                        // 000000002140: D0420022 00022D2A
	v_cmp_eq_f32_e64 s[36:37], v42, v23                        // 000000002148: D0420024 00022F2A
	v_cmp_eq_f32_e64 s[38:39], v42, v24                        // 000000002150: D0420026 0002312A
	s_ff1_i32_b64 s52, s[32:33]                                // 000000002158: BEB41120
	s_ff1_i32_b64 s53, s[34:35]                                // 00000000215C: BEB51122
	s_ff1_i32_b64 s54, s[36:37]                                // 000000002160: BEB61124
	s_ff1_i32_b64 s55, s[38:39]                                // 000000002164: BEB71126
	v_cmp_eq_f32_e64 s[40:41], v43, v25                        // 000000002168: D0420028 0002332B
	v_cmp_eq_f32_e64 s[42:43], v43, v26                        // 000000002170: D042002A 0002352B
	v_cmp_eq_f32_e64 s[44:45], v43, v27                        // 000000002178: D042002C 0002372B
	v_cmp_eq_f32_e64 s[46:47], v43, v28                        // 000000002180: D042002E 0002392B
	s_ff1_i32_b64 s56, s[40:41]                                // 000000002188: BEB81128
	s_ff1_i32_b64 s57, s[42:43]                                // 00000000218C: BEB9112A
	s_ff1_i32_b64 s58, s[44:45]                                // 000000002190: BEBA112C
	s_ff1_i32_b64 s59, s[46:47]                                // 000000002194: BEBB112E
	v_readlane_b32 s20, v41, 0                                 // 000000002198: D2890014 00010129
	v_writelane_b32 v32, s20, 0                                // 0000000021A0: D28A0020 00010014
	v_readlane_b32 s21, v42, 0                                 // 0000000021A8: D2890015 0001012A
	v_writelane_b32 v33, s21, 0                                // 0000000021B0: D28A0021 00010015
	v_readlane_b32 s22, v43, 0                                 // 0000000021B8: D2890016 0001012B
	v_writelane_b32 v34, s22, 0                                // 0000000021C0: D28A0022 00010016
	s_mov_b32 s22, s48                                         // 0000000021C8: BE960030
	s_cmp_eq_u32 s48, -1                                       // 0000000021CC: BF06C130
	s_cselect_b32 s21, 1, 0                                    // 0000000021D0: 85158081
	s_cbranch_scc0 label_0186                                  // 0000000021D4: BF840010
	s_add_u32 s72, s21, s72                                    // 0000000021D8: 80484815
	s_mov_b32 s22, s49                                         // 0000000021DC: BE960031
	s_cmp_eq_u32 s49, -1                                       // 0000000021E0: BF06C131
	s_cselect_b32 s21, 1, 0                                    // 0000000021E4: 85158081
	s_cbranch_scc0 label_0186                                  // 0000000021E8: BF84000B
	s_add_u32 s72, s21, s72                                    // 0000000021EC: 80484815
	s_mov_b32 s22, s50                                         // 0000000021F0: BE960032
	s_cmp_eq_u32 s50, -1                                       // 0000000021F4: BF06C132
	s_cselect_b32 s21, 1, 0                                    // 0000000021F8: 85158081
	s_cbranch_scc0 label_0186                                  // 0000000021FC: BF840006
	s_add_u32 s72, s21, s72                                    // 000000002200: 80484815
	s_mov_b32 s22, s51                                         // 000000002204: BE960033
	s_cmp_eq_u32 s51, -1                                       // 000000002208: BF06C133
	s_cselect_b32 s21, 1, 0                                    // 00000000220C: 85158081
	s_cbranch_scc0 label_0186                                  // 000000002210: BF840001
	s_add_u32 s72, s21, s72                                    // 000000002214: 80484815

0000000000002218 <label_0186>:
	s_set_gpr_idx_on s72, gpr_idx(DST)                         // 000000002218: BF110848
	v_writelane_b32 v17, 0, s22                                // 00000000221C: D28A0011 00002C80
	s_set_gpr_idx_off                                          // 000000002224: BF9C0000
	s_mul_i32 s72, 64, s72                                     // 000000002228: 924848C0
	s_add_u32 s72, s22, s72                                    // 00000000222C: 80484816
	v_writelane_b32 v29, s72, 0                                // 000000002230: D28A001D 00010048
	s_mov_b32 s22, s52                                         // 000000002238: BE960034
	s_cmp_eq_u32 s52, -1                                       // 00000000223C: BF06C134
	s_cselect_b32 s21, 1, 0                                    // 000000002240: 85158081
	s_cbranch_scc0 label_01A2                                  // 000000002244: BF840010
	s_add_u32 s78, s21, s78                                    // 000000002248: 804E4E15
	s_mov_b32 s22, s53                                         // 00000000224C: BE960035
	s_cmp_eq_u32 s53, -1                                       // 000000002250: BF06C135
	s_cselect_b32 s21, 1, 0                                    // 000000002254: 85158081
	s_cbranch_scc0 label_01A2                                  // 000000002258: BF84000B
	s_add_u32 s78, s21, s78                                    // 00000000225C: 804E4E15
	s_mov_b32 s22, s54                                         // 000000002260: BE960036
	s_cmp_eq_u32 s54, -1                                       // 000000002264: BF06C136
	s_cselect_b32 s21, 1, 0                                    // 000000002268: 85158081
	s_cbranch_scc0 label_01A2                                  // 00000000226C: BF840006
	s_add_u32 s78, s21, s78                                    // 000000002270: 804E4E15
	s_mov_b32 s22, s55                                         // 000000002274: BE960037
	s_cmp_eq_u32 s55, -1                                       // 000000002278: BF06C137
	s_cselect_b32 s21, 1, 0                                    // 00000000227C: 85158081
	s_cbranch_scc0 label_01A2                                  // 000000002280: BF840001
	s_add_u32 s78, s21, s78                                    // 000000002284: 804E4E15

0000000000002288 <label_01A2>:
	s_set_gpr_idx_on s78, gpr_idx(DST)                         // 000000002288: BF11084E
	v_writelane_b32 v21, 0, s22                                // 00000000228C: D28A0015 00002C80
	s_set_gpr_idx_off                                          // 000000002294: BF9C0000
	s_mul_i32 s78, 64, s78                                     // 000000002298: 924E4EC0
	s_add_u32 s78, s22, s78                                    // 00000000229C: 804E4E16
	v_writelane_b32 v30, s78, 0                                // 0000000022A0: D28A001E 0001004E
	s_mov_b32 s22, s56                                         // 0000000022A8: BE960038
	s_cmp_eq_u32 s56, -1                                       // 0000000022AC: BF06C138
	s_cselect_b32 s21, 1, 0                                    // 0000000022B0: 85158081
	s_cbranch_scc0 label_01BE                                  // 0000000022B4: BF840010
	s_add_u32 s84, s21, s84                                    // 0000000022B8: 80545415
	s_mov_b32 s22, s57                                         // 0000000022BC: BE960039
	s_cmp_eq_u32 s57, -1                                       // 0000000022C0: BF06C139
	s_cselect_b32 s21, 1, 0                                    // 0000000022C4: 85158081
	s_cbranch_scc0 label_01BE                                  // 0000000022C8: BF84000B
	s_add_u32 s84, s21, s84                                    // 0000000022CC: 80545415
	s_mov_b32 s22, s58                                         // 0000000022D0: BE96003A
	s_cmp_eq_u32 s58, -1                                       // 0000000022D4: BF06C13A
	s_cselect_b32 s21, 1, 0                                    // 0000000022D8: 85158081
	s_cbranch_scc0 label_01BE                                  // 0000000022DC: BF840006
	s_add_u32 s84, s21, s84                                    // 0000000022E0: 80545415
	s_mov_b32 s22, s59                                         // 0000000022E4: BE96003B
	s_cmp_eq_u32 s59, -1                                       // 0000000022E8: BF06C13B
	s_cselect_b32 s21, 1, 0                                    // 0000000022EC: 85158081
	s_cbranch_scc0 label_01BE                                  // 0000000022F0: BF840001
	s_add_u32 s84, s21, s84                                    // 0000000022F4: 80545415

00000000000022f8 <label_01BE>:
	s_set_gpr_idx_on s84, gpr_idx(DST)                         // 0000000022F8: BF110854
	v_writelane_b32 v25, 0, s22                                // 0000000022FC: D28A0019 00002C80
	s_set_gpr_idx_off                                          // 000000002304: BF9C0000
	s_mul_i32 s84, 64, s84                                     // 000000002308: 925454C0
	s_add_u32 s84, s22, s84                                    // 00000000230C: 80545416
	v_writelane_b32 v31, s84, 0                                // 000000002310: D28A001F 00010054
	v_max_f32_e32 v41, v17, v18                                // 000000002318: 16522511
	v_max3_f32 v41, v41, v19, v20                              // 00000000231C: D1D30029 04522729
	v_max_f32_e32 v42, v21, v22                                // 000000002324: 16542D15
	v_max3_f32 v42, v42, v23, v24                              // 000000002328: D1D3002A 04622F2A
	v_max_f32_e32 v43, v25, v26                                // 000000002330: 16563519
	v_max3_f32 v43, v43, v27, v28                              // 000000002334: D1D3002B 0472372B
	v_max_f32_dpp v4, v41, v41 quad_perm:[1,0,3,2] row_mask:0xf bank_mask:0xf// 00000000233C: 160852FA FF00B129
	v_max_f32_dpp v5, v42, v42 quad_perm:[1,0,3,2] row_mask:0xf bank_mask:0xf// 000000002344: 160A54FA FF00B12A
	v_max_f32_dpp v6, v43, v43 quad_perm:[1,0,3,2] row_mask:0xf bank_mask:0xf// 00000000234C: 160C56FA FF00B12B
	v_max_f32_dpp v4, v4, v4 quad_perm:[2,3,0,1] row_mask:0xf bank_mask:0xf// 000000002354: 160808FA FF004E04
	v_max_f32_dpp v5, v5, v5 quad_perm:[2,3,0,1] row_mask:0xf bank_mask:0xf// 00000000235C: 160A0AFA FF004E05
	v_max_f32_dpp v6, v6, v6 quad_perm:[2,3,0,1] row_mask:0xf bank_mask:0xf// 000000002364: 160C0CFA FF004E06
	v_max_f32_dpp v4, v4, v4 row_shr:4 row_mask:0xf bank_mask:0xf// 00000000236C: 160808FA FF011404
	v_max_f32_dpp v5, v5, v5 row_shr:4 row_mask:0xf bank_mask:0xf// 000000002374: 160A0AFA FF011405
	v_max_f32_dpp v6, v6, v6 row_shr:4 row_mask:0xf bank_mask:0xf// 00000000237C: 160C0CFA FF011406
	v_max_f32_dpp v4, v4, v4 row_shr:8 row_mask:0xf bank_mask:0xf// 000000002384: 160808FA FF011804
	v_max_f32_dpp v5, v5, v5 row_shr:8 row_mask:0xf bank_mask:0xf// 00000000238C: 160A0AFA FF011805
	v_max_f32_dpp v6, v6, v6 row_shr:8 row_mask:0xf bank_mask:0xf// 000000002394: 160C0CFA FF011806
	v_max_f32_dpp v4, v4, v4 row_bcast:15 row_mask:0xf bank_mask:0xf// 00000000239C: 160808FA FF014204
	v_max_f32_dpp v5, v5, v5 row_bcast:15 row_mask:0xf bank_mask:0xf// 0000000023A4: 160A0AFA FF014205
	v_max_f32_dpp v6, v6, v6 row_bcast:15 row_mask:0xf bank_mask:0xf// 0000000023AC: 160C0CFA FF014206
	v_max_f32_dpp v4, v4, v4 row_bcast:31 row_mask:0xf bank_mask:0xf// 0000000023B4: 160808FA FF014304
	v_max_f32_dpp v5, v5, v5 row_bcast:31 row_mask:0xf bank_mask:0xf// 0000000023BC: 160A0AFA FF014305
	v_max_f32_dpp v6, v6, v6 row_bcast:31 row_mask:0xf bank_mask:0xf// 0000000023C4: 160C0CFA FF014306
	v_readlane_b32 s20, v4, 63                                 // 0000000023CC: D2890014 00017F04
	v_mov_b32_e32 v41, s20                                     // 0000000023D4: 7E520214
	v_readlane_b32 s21, v5, 63                                 // 0000000023D8: D2890015 00017F05
	v_mov_b32_e32 v42, s21                                     // 0000000023E0: 7E540215
	v_readlane_b32 s22, v6, 63                                 // 0000000023E4: D2890016 00017F06
	v_mov_b32_e32 v43, s22                                     // 0000000023EC: 7E560216
	v_cmp_eq_f32_e64 s[24:25], v41, v17                        // 0000000023F0: D0420018 00022329
	v_cmp_eq_f32_e64 s[26:27], v41, v18                        // 0000000023F8: D042001A 00022529
	v_cmp_eq_f32_e64 s[28:29], v41, v19                        // 000000002400: D042001C 00022729
	v_cmp_eq_f32_e64 s[30:31], v41, v20                        // 000000002408: D042001E 00022929
	s_ff1_i32_b64 s48, s[24:25]                                // 000000002410: BEB01118
	s_ff1_i32_b64 s49, s[26:27]                                // 000000002414: BEB1111A
	s_ff1_i32_b64 s50, s[28:29]                                // 000000002418: BEB2111C
	s_ff1_i32_b64 s51, s[30:31]                                // 00000000241C: BEB3111E
	v_cmp_eq_f32_e64 s[32:33], v42, v21                        // 000000002420: D0420020 00022B2A
	v_cmp_eq_f32_e64 s[34:35], v42, v22                        // 000000002428: D0420022 00022D2A
	v_cmp_eq_f32_e64 s[36:37], v42, v23                        // 000000002430: D0420024 00022F2A
	v_cmp_eq_f32_e64 s[38:39], v42, v24                        // 000000002438: D0420026 0002312A
	s_ff1_i32_b64 s52, s[32:33]                                // 000000002440: BEB41120
	s_ff1_i32_b64 s53, s[34:35]                                // 000000002444: BEB51122
	s_ff1_i32_b64 s54, s[36:37]                                // 000000002448: BEB61124
	s_ff1_i32_b64 s55, s[38:39]                                // 00000000244C: BEB71126
	v_cmp_eq_f32_e64 s[40:41], v43, v25                        // 000000002450: D0420028 0002332B
	v_cmp_eq_f32_e64 s[42:43], v43, v26                        // 000000002458: D042002A 0002352B
	v_cmp_eq_f32_e64 s[44:45], v43, v27                        // 000000002460: D042002C 0002372B
	v_cmp_eq_f32_e64 s[46:47], v43, v28                        // 000000002468: D042002E 0002392B
	s_ff1_i32_b64 s56, s[40:41]                                // 000000002470: BEB81128
	s_ff1_i32_b64 s57, s[42:43]                                // 000000002474: BEB9112A
	s_ff1_i32_b64 s58, s[44:45]                                // 000000002478: BEBA112C
	s_ff1_i32_b64 s59, s[46:47]                                // 00000000247C: BEBB112E
	v_readlane_b32 s20, v41, 0                                 // 000000002480: D2890014 00010129
	v_writelane_b32 v32, s20, 1                                // 000000002488: D28A0020 00010214
	v_readlane_b32 s21, v42, 0                                 // 000000002490: D2890015 0001012A
	v_writelane_b32 v33, s21, 1                                // 000000002498: D28A0021 00010215
	v_readlane_b32 s22, v43, 0                                 // 0000000024A0: D2890016 0001012B
	v_writelane_b32 v34, s22, 1                                // 0000000024A8: D28A0022 00010216
	s_mov_b32 s22, s48                                         // 0000000024B0: BE960030
	s_cmp_eq_u32 s48, -1                                       // 0000000024B4: BF06C130
	s_cselect_b32 s21, 1, 0                                    // 0000000024B8: 85158081
	s_cbranch_scc0 label_0240                                  // 0000000024BC: BF840010
	s_add_u32 s73, s21, s73                                    // 0000000024C0: 80494915
	s_mov_b32 s22, s49                                         // 0000000024C4: BE960031
	s_cmp_eq_u32 s49, -1                                       // 0000000024C8: BF06C131
	s_cselect_b32 s21, 1, 0                                    // 0000000024CC: 85158081
	s_cbranch_scc0 label_0240                                  // 0000000024D0: BF84000B
	s_add_u32 s73, s21, s73                                    // 0000000024D4: 80494915
	s_mov_b32 s22, s50                                         // 0000000024D8: BE960032
	s_cmp_eq_u32 s50, -1                                       // 0000000024DC: BF06C132
	s_cselect_b32 s21, 1, 0                                    // 0000000024E0: 85158081
	s_cbranch_scc0 label_0240                                  // 0000000024E4: BF840006
	s_add_u32 s73, s21, s73                                    // 0000000024E8: 80494915
	s_mov_b32 s22, s51                                         // 0000000024EC: BE960033
	s_cmp_eq_u32 s51, -1                                       // 0000000024F0: BF06C133
	s_cselect_b32 s21, 1, 0                                    // 0000000024F4: 85158081
	s_cbranch_scc0 label_0240                                  // 0000000024F8: BF840001
	s_add_u32 s73, s21, s73                                    // 0000000024FC: 80494915

0000000000002500 <label_0240>:
	s_set_gpr_idx_on s73, gpr_idx(DST)                         // 000000002500: BF110849
	v_writelane_b32 v17, 0, s22                                // 000000002504: D28A0011 00002C80
	s_set_gpr_idx_off                                          // 00000000250C: BF9C0000
	s_mul_i32 s73, 64, s73                                     // 000000002510: 924949C0
	s_add_u32 s73, s22, s73                                    // 000000002514: 80494916
	v_writelane_b32 v29, s73, 1                                // 000000002518: D28A001D 00010249
	s_mov_b32 s22, s52                                         // 000000002520: BE960034
	s_cmp_eq_u32 s52, -1                                       // 000000002524: BF06C134
	s_cselect_b32 s21, 1, 0                                    // 000000002528: 85158081
	s_cbranch_scc0 label_025C                                  // 00000000252C: BF840010
	s_add_u32 s79, s21, s79                                    // 000000002530: 804F4F15
	s_mov_b32 s22, s53                                         // 000000002534: BE960035
	s_cmp_eq_u32 s53, -1                                       // 000000002538: BF06C135
	s_cselect_b32 s21, 1, 0                                    // 00000000253C: 85158081
	s_cbranch_scc0 label_025C                                  // 000000002540: BF84000B
	s_add_u32 s79, s21, s79                                    // 000000002544: 804F4F15
	s_mov_b32 s22, s54                                         // 000000002548: BE960036
	s_cmp_eq_u32 s54, -1                                       // 00000000254C: BF06C136
	s_cselect_b32 s21, 1, 0                                    // 000000002550: 85158081
	s_cbranch_scc0 label_025C                                  // 000000002554: BF840006
	s_add_u32 s79, s21, s79                                    // 000000002558: 804F4F15
	s_mov_b32 s22, s55                                         // 00000000255C: BE960037
	s_cmp_eq_u32 s55, -1                                       // 000000002560: BF06C137
	s_cselect_b32 s21, 1, 0                                    // 000000002564: 85158081
	s_cbranch_scc0 label_025C                                  // 000000002568: BF840001
	s_add_u32 s79, s21, s79                                    // 00000000256C: 804F4F15

0000000000002570 <label_025C>:
	s_set_gpr_idx_on s79, gpr_idx(DST)                         // 000000002570: BF11084F
	v_writelane_b32 v21, 0, s22                                // 000000002574: D28A0015 00002C80
	s_set_gpr_idx_off                                          // 00000000257C: BF9C0000
	s_mul_i32 s79, 64, s79                                     // 000000002580: 924F4FC0
	s_add_u32 s79, s22, s79                                    // 000000002584: 804F4F16
	v_writelane_b32 v30, s79, 1                                // 000000002588: D28A001E 0001024F
	s_mov_b32 s22, s56                                         // 000000002590: BE960038
	s_cmp_eq_u32 s56, -1                                       // 000000002594: BF06C138
	s_cselect_b32 s21, 1, 0                                    // 000000002598: 85158081
	s_cbranch_scc0 label_0278                                  // 00000000259C: BF840010
	s_add_u32 s85, s21, s85                                    // 0000000025A0: 80555515
	s_mov_b32 s22, s57                                         // 0000000025A4: BE960039
	s_cmp_eq_u32 s57, -1                                       // 0000000025A8: BF06C139
	s_cselect_b32 s21, 1, 0                                    // 0000000025AC: 85158081
	s_cbranch_scc0 label_0278                                  // 0000000025B0: BF84000B
	s_add_u32 s85, s21, s85                                    // 0000000025B4: 80555515
	s_mov_b32 s22, s58                                         // 0000000025B8: BE96003A
	s_cmp_eq_u32 s58, -1                                       // 0000000025BC: BF06C13A
	s_cselect_b32 s21, 1, 0                                    // 0000000025C0: 85158081
	s_cbranch_scc0 label_0278                                  // 0000000025C4: BF840006
	s_add_u32 s85, s21, s85                                    // 0000000025C8: 80555515
	s_mov_b32 s22, s59                                         // 0000000025CC: BE96003B
	s_cmp_eq_u32 s59, -1                                       // 0000000025D0: BF06C13B
	s_cselect_b32 s21, 1, 0                                    // 0000000025D4: 85158081
	s_cbranch_scc0 label_0278                                  // 0000000025D8: BF840001
	s_add_u32 s85, s21, s85                                    // 0000000025DC: 80555515

00000000000025e0 <label_0278>:
	s_set_gpr_idx_on s85, gpr_idx(DST)                         // 0000000025E0: BF110855
	v_writelane_b32 v25, 0, s22                                // 0000000025E4: D28A0019 00002C80
	s_set_gpr_idx_off                                          // 0000000025EC: BF9C0000
	s_mul_i32 s85, 64, s85                                     // 0000000025F0: 925555C0
	s_add_u32 s85, s22, s85                                    // 0000000025F4: 80555516
	v_writelane_b32 v31, s85, 1                                // 0000000025F8: D28A001F 00010255
	v_max_f32_e32 v41, v17, v18                                // 000000002600: 16522511
	v_max3_f32 v41, v41, v19, v20                              // 000000002604: D1D30029 04522729
	v_max_f32_e32 v42, v21, v22                                // 00000000260C: 16542D15
	v_max3_f32 v42, v42, v23, v24                              // 000000002610: D1D3002A 04622F2A
	v_max_f32_e32 v43, v25, v26                                // 000000002618: 16563519
	v_max3_f32 v43, v43, v27, v28                              // 00000000261C: D1D3002B 0472372B
	v_max_f32_dpp v4, v41, v41 quad_perm:[1,0,3,2] row_mask:0xf bank_mask:0xf// 000000002624: 160852FA FF00B129
	v_max_f32_dpp v5, v42, v42 quad_perm:[1,0,3,2] row_mask:0xf bank_mask:0xf// 00000000262C: 160A54FA FF00B12A
	v_max_f32_dpp v6, v43, v43 quad_perm:[1,0,3,2] row_mask:0xf bank_mask:0xf// 000000002634: 160C56FA FF00B12B
	v_max_f32_dpp v4, v4, v4 quad_perm:[2,3,0,1] row_mask:0xf bank_mask:0xf// 00000000263C: 160808FA FF004E04
	v_max_f32_dpp v5, v5, v5 quad_perm:[2,3,0,1] row_mask:0xf bank_mask:0xf// 000000002644: 160A0AFA FF004E05
	v_max_f32_dpp v6, v6, v6 quad_perm:[2,3,0,1] row_mask:0xf bank_mask:0xf// 00000000264C: 160C0CFA FF004E06
	v_max_f32_dpp v4, v4, v4 row_shr:4 row_mask:0xf bank_mask:0xf// 000000002654: 160808FA FF011404
	v_max_f32_dpp v5, v5, v5 row_shr:4 row_mask:0xf bank_mask:0xf// 00000000265C: 160A0AFA FF011405
	v_max_f32_dpp v6, v6, v6 row_shr:4 row_mask:0xf bank_mask:0xf// 000000002664: 160C0CFA FF011406
	v_max_f32_dpp v4, v4, v4 row_shr:8 row_mask:0xf bank_mask:0xf// 00000000266C: 160808FA FF011804
	v_max_f32_dpp v5, v5, v5 row_shr:8 row_mask:0xf bank_mask:0xf// 000000002674: 160A0AFA FF011805
	v_max_f32_dpp v6, v6, v6 row_shr:8 row_mask:0xf bank_mask:0xf// 00000000267C: 160C0CFA FF011806
	v_max_f32_dpp v4, v4, v4 row_bcast:15 row_mask:0xf bank_mask:0xf// 000000002684: 160808FA FF014204
	v_max_f32_dpp v5, v5, v5 row_bcast:15 row_mask:0xf bank_mask:0xf// 00000000268C: 160A0AFA FF014205
	v_max_f32_dpp v6, v6, v6 row_bcast:15 row_mask:0xf bank_mask:0xf// 000000002694: 160C0CFA FF014206
	v_max_f32_dpp v4, v4, v4 row_bcast:31 row_mask:0xf bank_mask:0xf// 00000000269C: 160808FA FF014304
	v_max_f32_dpp v5, v5, v5 row_bcast:31 row_mask:0xf bank_mask:0xf// 0000000026A4: 160A0AFA FF014305
	v_max_f32_dpp v6, v6, v6 row_bcast:31 row_mask:0xf bank_mask:0xf// 0000000026AC: 160C0CFA FF014306
	v_readlane_b32 s20, v4, 63                                 // 0000000026B4: D2890014 00017F04
	v_mov_b32_e32 v41, s20                                     // 0000000026BC: 7E520214
	v_readlane_b32 s21, v5, 63                                 // 0000000026C0: D2890015 00017F05
	v_mov_b32_e32 v42, s21                                     // 0000000026C8: 7E540215
	v_readlane_b32 s22, v6, 63                                 // 0000000026CC: D2890016 00017F06
	v_mov_b32_e32 v43, s22                                     // 0000000026D4: 7E560216
	v_cmp_eq_f32_e64 s[24:25], v41, v17                        // 0000000026D8: D0420018 00022329
	v_cmp_eq_f32_e64 s[26:27], v41, v18                        // 0000000026E0: D042001A 00022529
	v_cmp_eq_f32_e64 s[28:29], v41, v19                        // 0000000026E8: D042001C 00022729
	v_cmp_eq_f32_e64 s[30:31], v41, v20                        // 0000000026F0: D042001E 00022929
	s_ff1_i32_b64 s48, s[24:25]                                // 0000000026F8: BEB01118
	s_ff1_i32_b64 s49, s[26:27]                                // 0000000026FC: BEB1111A
	s_ff1_i32_b64 s50, s[28:29]                                // 000000002700: BEB2111C
	s_ff1_i32_b64 s51, s[30:31]                                // 000000002704: BEB3111E
	v_cmp_eq_f32_e64 s[32:33], v42, v21                        // 000000002708: D0420020 00022B2A
	v_cmp_eq_f32_e64 s[34:35], v42, v22                        // 000000002710: D0420022 00022D2A
	v_cmp_eq_f32_e64 s[36:37], v42, v23                        // 000000002718: D0420024 00022F2A
	v_cmp_eq_f32_e64 s[38:39], v42, v24                        // 000000002720: D0420026 0002312A
	s_ff1_i32_b64 s52, s[32:33]                                // 000000002728: BEB41120
	s_ff1_i32_b64 s53, s[34:35]                                // 00000000272C: BEB51122
	s_ff1_i32_b64 s54, s[36:37]                                // 000000002730: BEB61124
	s_ff1_i32_b64 s55, s[38:39]                                // 000000002734: BEB71126
	v_cmp_eq_f32_e64 s[40:41], v43, v25                        // 000000002738: D0420028 0002332B
	v_cmp_eq_f32_e64 s[42:43], v43, v26                        // 000000002740: D042002A 0002352B
	v_cmp_eq_f32_e64 s[44:45], v43, v27                        // 000000002748: D042002C 0002372B
	v_cmp_eq_f32_e64 s[46:47], v43, v28                        // 000000002750: D042002E 0002392B
	s_ff1_i32_b64 s56, s[40:41]                                // 000000002758: BEB81128
	s_ff1_i32_b64 s57, s[42:43]                                // 00000000275C: BEB9112A
	s_ff1_i32_b64 s58, s[44:45]                                // 000000002760: BEBA112C
	s_ff1_i32_b64 s59, s[46:47]                                // 000000002764: BEBB112E
	v_readlane_b32 s20, v41, 0                                 // 000000002768: D2890014 00010129
	v_writelane_b32 v32, s20, 2                                // 000000002770: D28A0020 00010414
	v_readlane_b32 s21, v42, 0                                 // 000000002778: D2890015 0001012A
	v_writelane_b32 v33, s21, 2                                // 000000002780: D28A0021 00010415
	v_readlane_b32 s22, v43, 0                                 // 000000002788: D2890016 0001012B
	v_writelane_b32 v34, s22, 2                                // 000000002790: D28A0022 00010416
	s_mov_b32 s22, s48                                         // 000000002798: BE960030
	s_cmp_eq_u32 s48, -1                                       // 00000000279C: BF06C130
	s_cselect_b32 s21, 1, 0                                    // 0000000027A0: 85158081
	s_cbranch_scc0 label_02FA                                  // 0000000027A4: BF840010
	s_add_u32 s74, s21, s74                                    // 0000000027A8: 804A4A15
	s_mov_b32 s22, s49                                         // 0000000027AC: BE960031
	s_cmp_eq_u32 s49, -1                                       // 0000000027B0: BF06C131
	s_cselect_b32 s21, 1, 0                                    // 0000000027B4: 85158081
	s_cbranch_scc0 label_02FA                                  // 0000000027B8: BF84000B
	s_add_u32 s74, s21, s74                                    // 0000000027BC: 804A4A15
	s_mov_b32 s22, s50                                         // 0000000027C0: BE960032
	s_cmp_eq_u32 s50, -1                                       // 0000000027C4: BF06C132
	s_cselect_b32 s21, 1, 0                                    // 0000000027C8: 85158081
	s_cbranch_scc0 label_02FA                                  // 0000000027CC: BF840006
	s_add_u32 s74, s21, s74                                    // 0000000027D0: 804A4A15
	s_mov_b32 s22, s51                                         // 0000000027D4: BE960033
	s_cmp_eq_u32 s51, -1                                       // 0000000027D8: BF06C133
	s_cselect_b32 s21, 1, 0                                    // 0000000027DC: 85158081
	s_cbranch_scc0 label_02FA                                  // 0000000027E0: BF840001
	s_add_u32 s74, s21, s74                                    // 0000000027E4: 804A4A15

00000000000027e8 <label_02FA>:
	s_set_gpr_idx_on s74, gpr_idx(DST)                         // 0000000027E8: BF11084A
	v_writelane_b32 v17, 0, s22                                // 0000000027EC: D28A0011 00002C80
	s_set_gpr_idx_off                                          // 0000000027F4: BF9C0000
	s_mul_i32 s74, 64, s74                                     // 0000000027F8: 924A4AC0
	s_add_u32 s74, s22, s74                                    // 0000000027FC: 804A4A16
	v_writelane_b32 v29, s74, 2                                // 000000002800: D28A001D 0001044A
	s_mov_b32 s22, s52                                         // 000000002808: BE960034
	s_cmp_eq_u32 s52, -1                                       // 00000000280C: BF06C134
	s_cselect_b32 s21, 1, 0                                    // 000000002810: 85158081
	s_cbranch_scc0 label_0316                                  // 000000002814: BF840010
	s_add_u32 s80, s21, s80                                    // 000000002818: 80505015
	s_mov_b32 s22, s53                                         // 00000000281C: BE960035
	s_cmp_eq_u32 s53, -1                                       // 000000002820: BF06C135
	s_cselect_b32 s21, 1, 0                                    // 000000002824: 85158081
	s_cbranch_scc0 label_0316                                  // 000000002828: BF84000B
	s_add_u32 s80, s21, s80                                    // 00000000282C: 80505015
	s_mov_b32 s22, s54                                         // 000000002830: BE960036
	s_cmp_eq_u32 s54, -1                                       // 000000002834: BF06C136
	s_cselect_b32 s21, 1, 0                                    // 000000002838: 85158081
	s_cbranch_scc0 label_0316                                  // 00000000283C: BF840006
	s_add_u32 s80, s21, s80                                    // 000000002840: 80505015
	s_mov_b32 s22, s55                                         // 000000002844: BE960037
	s_cmp_eq_u32 s55, -1                                       // 000000002848: BF06C137
	s_cselect_b32 s21, 1, 0                                    // 00000000284C: 85158081
	s_cbranch_scc0 label_0316                                  // 000000002850: BF840001
	s_add_u32 s80, s21, s80                                    // 000000002854: 80505015

0000000000002858 <label_0316>:
	s_set_gpr_idx_on s80, gpr_idx(DST)                         // 000000002858: BF110850
	v_writelane_b32 v21, 0, s22                                // 00000000285C: D28A0015 00002C80
	s_set_gpr_idx_off                                          // 000000002864: BF9C0000
	s_mul_i32 s80, 64, s80                                     // 000000002868: 925050C0
	s_add_u32 s80, s22, s80                                    // 00000000286C: 80505016
	v_writelane_b32 v30, s80, 2                                // 000000002870: D28A001E 00010450
	s_mov_b32 s22, s56                                         // 000000002878: BE960038
	s_cmp_eq_u32 s56, -1                                       // 00000000287C: BF06C138
	s_cselect_b32 s21, 1, 0                                    // 000000002880: 85158081
	s_cbranch_scc0 label_0332                                  // 000000002884: BF840010
	s_add_u32 s86, s21, s86                                    // 000000002888: 80565615
	s_mov_b32 s22, s57                                         // 00000000288C: BE960039
	s_cmp_eq_u32 s57, -1                                       // 000000002890: BF06C139
	s_cselect_b32 s21, 1, 0                                    // 000000002894: 85158081
	s_cbranch_scc0 label_0332                                  // 000000002898: BF84000B
	s_add_u32 s86, s21, s86                                    // 00000000289C: 80565615
	s_mov_b32 s22, s58                                         // 0000000028A0: BE96003A
	s_cmp_eq_u32 s58, -1                                       // 0000000028A4: BF06C13A
	s_cselect_b32 s21, 1, 0                                    // 0000000028A8: 85158081
	s_cbranch_scc0 label_0332                                  // 0000000028AC: BF840006
	s_add_u32 s86, s21, s86                                    // 0000000028B0: 80565615
	s_mov_b32 s22, s59                                         // 0000000028B4: BE96003B
	s_cmp_eq_u32 s59, -1                                       // 0000000028B8: BF06C13B
	s_cselect_b32 s21, 1, 0                                    // 0000000028BC: 85158081
	s_cbranch_scc0 label_0332                                  // 0000000028C0: BF840001
	s_add_u32 s86, s21, s86                                    // 0000000028C4: 80565615

00000000000028c8 <label_0332>:
	s_set_gpr_idx_on s86, gpr_idx(DST)                         // 0000000028C8: BF110856
	v_writelane_b32 v25, 0, s22                                // 0000000028CC: D28A0019 00002C80
	s_set_gpr_idx_off                                          // 0000000028D4: BF9C0000
	s_mul_i32 s86, 64, s86                                     // 0000000028D8: 925656C0
	s_add_u32 s86, s22, s86                                    // 0000000028DC: 80565616
	v_writelane_b32 v31, s86, 2                                // 0000000028E0: D28A001F 00010456
	v_max_f32_e32 v41, v17, v18                                // 0000000028E8: 16522511
	v_max3_f32 v41, v41, v19, v20                              // 0000000028EC: D1D30029 04522729
	v_max_f32_e32 v42, v21, v22                                // 0000000028F4: 16542D15
	v_max3_f32 v42, v42, v23, v24                              // 0000000028F8: D1D3002A 04622F2A
	v_max_f32_e32 v43, v25, v26                                // 000000002900: 16563519
	v_max3_f32 v43, v43, v27, v28                              // 000000002904: D1D3002B 0472372B
	v_max_f32_dpp v4, v41, v41 quad_perm:[1,0,3,2] row_mask:0xf bank_mask:0xf// 00000000290C: 160852FA FF00B129
	v_max_f32_dpp v5, v42, v42 quad_perm:[1,0,3,2] row_mask:0xf bank_mask:0xf// 000000002914: 160A54FA FF00B12A
	v_max_f32_dpp v6, v43, v43 quad_perm:[1,0,3,2] row_mask:0xf bank_mask:0xf// 00000000291C: 160C56FA FF00B12B
	v_max_f32_dpp v4, v4, v4 quad_perm:[2,3,0,1] row_mask:0xf bank_mask:0xf// 000000002924: 160808FA FF004E04
	v_max_f32_dpp v5, v5, v5 quad_perm:[2,3,0,1] row_mask:0xf bank_mask:0xf// 00000000292C: 160A0AFA FF004E05
	v_max_f32_dpp v6, v6, v6 quad_perm:[2,3,0,1] row_mask:0xf bank_mask:0xf// 000000002934: 160C0CFA FF004E06
	v_max_f32_dpp v4, v4, v4 row_shr:4 row_mask:0xf bank_mask:0xf// 00000000293C: 160808FA FF011404
	v_max_f32_dpp v5, v5, v5 row_shr:4 row_mask:0xf bank_mask:0xf// 000000002944: 160A0AFA FF011405
	v_max_f32_dpp v6, v6, v6 row_shr:4 row_mask:0xf bank_mask:0xf// 00000000294C: 160C0CFA FF011406
	v_max_f32_dpp v4, v4, v4 row_shr:8 row_mask:0xf bank_mask:0xf// 000000002954: 160808FA FF011804
	v_max_f32_dpp v5, v5, v5 row_shr:8 row_mask:0xf bank_mask:0xf// 00000000295C: 160A0AFA FF011805
	v_max_f32_dpp v6, v6, v6 row_shr:8 row_mask:0xf bank_mask:0xf// 000000002964: 160C0CFA FF011806
	v_max_f32_dpp v4, v4, v4 row_bcast:15 row_mask:0xf bank_mask:0xf// 00000000296C: 160808FA FF014204
	v_max_f32_dpp v5, v5, v5 row_bcast:15 row_mask:0xf bank_mask:0xf// 000000002974: 160A0AFA FF014205
	v_max_f32_dpp v6, v6, v6 row_bcast:15 row_mask:0xf bank_mask:0xf// 00000000297C: 160C0CFA FF014206
	v_max_f32_dpp v4, v4, v4 row_bcast:31 row_mask:0xf bank_mask:0xf// 000000002984: 160808FA FF014304
	v_max_f32_dpp v5, v5, v5 row_bcast:31 row_mask:0xf bank_mask:0xf// 00000000298C: 160A0AFA FF014305
	v_max_f32_dpp v6, v6, v6 row_bcast:31 row_mask:0xf bank_mask:0xf// 000000002994: 160C0CFA FF014306
	v_readlane_b32 s20, v4, 63                                 // 00000000299C: D2890014 00017F04
	v_mov_b32_e32 v41, s20                                     // 0000000029A4: 7E520214
	v_readlane_b32 s21, v5, 63                                 // 0000000029A8: D2890015 00017F05
	v_mov_b32_e32 v42, s21                                     // 0000000029B0: 7E540215
	v_readlane_b32 s22, v6, 63                                 // 0000000029B4: D2890016 00017F06
	v_mov_b32_e32 v43, s22                                     // 0000000029BC: 7E560216
	v_cmp_eq_f32_e64 s[24:25], v41, v17                        // 0000000029C0: D0420018 00022329
	v_cmp_eq_f32_e64 s[26:27], v41, v18                        // 0000000029C8: D042001A 00022529
	v_cmp_eq_f32_e64 s[28:29], v41, v19                        // 0000000029D0: D042001C 00022729
	v_cmp_eq_f32_e64 s[30:31], v41, v20                        // 0000000029D8: D042001E 00022929
	s_ff1_i32_b64 s48, s[24:25]                                // 0000000029E0: BEB01118
	s_ff1_i32_b64 s49, s[26:27]                                // 0000000029E4: BEB1111A
	s_ff1_i32_b64 s50, s[28:29]                                // 0000000029E8: BEB2111C
	s_ff1_i32_b64 s51, s[30:31]                                // 0000000029EC: BEB3111E
	v_cmp_eq_f32_e64 s[32:33], v42, v21                        // 0000000029F0: D0420020 00022B2A
	v_cmp_eq_f32_e64 s[34:35], v42, v22                        // 0000000029F8: D0420022 00022D2A
	v_cmp_eq_f32_e64 s[36:37], v42, v23                        // 000000002A00: D0420024 00022F2A
	v_cmp_eq_f32_e64 s[38:39], v42, v24                        // 000000002A08: D0420026 0002312A
	s_ff1_i32_b64 s52, s[32:33]                                // 000000002A10: BEB41120
	s_ff1_i32_b64 s53, s[34:35]                                // 000000002A14: BEB51122
	s_ff1_i32_b64 s54, s[36:37]                                // 000000002A18: BEB61124
	s_ff1_i32_b64 s55, s[38:39]                                // 000000002A1C: BEB71126
	v_cmp_eq_f32_e64 s[40:41], v43, v25                        // 000000002A20: D0420028 0002332B
	v_cmp_eq_f32_e64 s[42:43], v43, v26                        // 000000002A28: D042002A 0002352B
	v_cmp_eq_f32_e64 s[44:45], v43, v27                        // 000000002A30: D042002C 0002372B
	v_cmp_eq_f32_e64 s[46:47], v43, v28                        // 000000002A38: D042002E 0002392B
	s_ff1_i32_b64 s56, s[40:41]                                // 000000002A40: BEB81128
	s_ff1_i32_b64 s57, s[42:43]                                // 000000002A44: BEB9112A
	s_ff1_i32_b64 s58, s[44:45]                                // 000000002A48: BEBA112C
	s_ff1_i32_b64 s59, s[46:47]                                // 000000002A4C: BEBB112E
	v_readlane_b32 s20, v41, 0                                 // 000000002A50: D2890014 00010129
	v_writelane_b32 v32, s20, 3                                // 000000002A58: D28A0020 00010614
	v_readlane_b32 s21, v42, 0                                 // 000000002A60: D2890015 0001012A
	v_writelane_b32 v33, s21, 3                                // 000000002A68: D28A0021 00010615
	v_readlane_b32 s22, v43, 0                                 // 000000002A70: D2890016 0001012B
	v_writelane_b32 v34, s22, 3                                // 000000002A78: D28A0022 00010616
	s_mov_b32 s22, s48                                         // 000000002A80: BE960030
	s_cmp_eq_u32 s48, -1                                       // 000000002A84: BF06C130
	s_cselect_b32 s21, 1, 0                                    // 000000002A88: 85158081
	s_cbranch_scc0 label_03B4                                  // 000000002A8C: BF840010
	s_add_u32 s75, s21, s75                                    // 000000002A90: 804B4B15
	s_mov_b32 s22, s49                                         // 000000002A94: BE960031
	s_cmp_eq_u32 s49, -1                                       // 000000002A98: BF06C131
	s_cselect_b32 s21, 1, 0                                    // 000000002A9C: 85158081
	s_cbranch_scc0 label_03B4                                  // 000000002AA0: BF84000B
	s_add_u32 s75, s21, s75                                    // 000000002AA4: 804B4B15
	s_mov_b32 s22, s50                                         // 000000002AA8: BE960032
	s_cmp_eq_u32 s50, -1                                       // 000000002AAC: BF06C132
	s_cselect_b32 s21, 1, 0                                    // 000000002AB0: 85158081
	s_cbranch_scc0 label_03B4                                  // 000000002AB4: BF840006
	s_add_u32 s75, s21, s75                                    // 000000002AB8: 804B4B15
	s_mov_b32 s22, s51                                         // 000000002ABC: BE960033
	s_cmp_eq_u32 s51, -1                                       // 000000002AC0: BF06C133
	s_cselect_b32 s21, 1, 0                                    // 000000002AC4: 85158081
	s_cbranch_scc0 label_03B4                                  // 000000002AC8: BF840001
	s_add_u32 s75, s21, s75                                    // 000000002ACC: 804B4B15

0000000000002ad0 <label_03B4>:
	s_set_gpr_idx_on s75, gpr_idx(DST)                         // 000000002AD0: BF11084B
	v_writelane_b32 v17, 0, s22                                // 000000002AD4: D28A0011 00002C80
	s_set_gpr_idx_off                                          // 000000002ADC: BF9C0000
	s_mul_i32 s75, 64, s75                                     // 000000002AE0: 924B4BC0
	s_add_u32 s75, s22, s75                                    // 000000002AE4: 804B4B16
	v_writelane_b32 v29, s75, 3                                // 000000002AE8: D28A001D 0001064B
	s_mov_b32 s22, s52                                         // 000000002AF0: BE960034
	s_cmp_eq_u32 s52, -1                                       // 000000002AF4: BF06C134
	s_cselect_b32 s21, 1, 0                                    // 000000002AF8: 85158081
	s_cbranch_scc0 label_03D0                                  // 000000002AFC: BF840010
	s_add_u32 s81, s21, s81                                    // 000000002B00: 80515115
	s_mov_b32 s22, s53                                         // 000000002B04: BE960035
	s_cmp_eq_u32 s53, -1                                       // 000000002B08: BF06C135
	s_cselect_b32 s21, 1, 0                                    // 000000002B0C: 85158081
	s_cbranch_scc0 label_03D0                                  // 000000002B10: BF84000B
	s_add_u32 s81, s21, s81                                    // 000000002B14: 80515115
	s_mov_b32 s22, s54                                         // 000000002B18: BE960036
	s_cmp_eq_u32 s54, -1                                       // 000000002B1C: BF06C136
	s_cselect_b32 s21, 1, 0                                    // 000000002B20: 85158081
	s_cbranch_scc0 label_03D0                                  // 000000002B24: BF840006
	s_add_u32 s81, s21, s81                                    // 000000002B28: 80515115
	s_mov_b32 s22, s55                                         // 000000002B2C: BE960037
	s_cmp_eq_u32 s55, -1                                       // 000000002B30: BF06C137
	s_cselect_b32 s21, 1, 0                                    // 000000002B34: 85158081
	s_cbranch_scc0 label_03D0                                  // 000000002B38: BF840001
	s_add_u32 s81, s21, s81                                    // 000000002B3C: 80515115

0000000000002b40 <label_03D0>:
	s_set_gpr_idx_on s81, gpr_idx(DST)                         // 000000002B40: BF110851
	v_writelane_b32 v21, 0, s22                                // 000000002B44: D28A0015 00002C80
	s_set_gpr_idx_off                                          // 000000002B4C: BF9C0000
	s_mul_i32 s81, 64, s81                                     // 000000002B50: 925151C0
	s_add_u32 s81, s22, s81                                    // 000000002B54: 80515116
	v_writelane_b32 v30, s81, 3                                // 000000002B58: D28A001E 00010651
	s_mov_b32 s22, s56                                         // 000000002B60: BE960038
	s_cmp_eq_u32 s56, -1                                       // 000000002B64: BF06C138
	s_cselect_b32 s21, 1, 0                                    // 000000002B68: 85158081
	s_cbranch_scc0 label_03EC                                  // 000000002B6C: BF840010
	s_add_u32 s87, s21, s87                                    // 000000002B70: 80575715
	s_mov_b32 s22, s57                                         // 000000002B74: BE960039
	s_cmp_eq_u32 s57, -1                                       // 000000002B78: BF06C139
	s_cselect_b32 s21, 1, 0                                    // 000000002B7C: 85158081
	s_cbranch_scc0 label_03EC                                  // 000000002B80: BF84000B
	s_add_u32 s87, s21, s87                                    // 000000002B84: 80575715
	s_mov_b32 s22, s58                                         // 000000002B88: BE96003A
	s_cmp_eq_u32 s58, -1                                       // 000000002B8C: BF06C13A
	s_cselect_b32 s21, 1, 0                                    // 000000002B90: 85158081
	s_cbranch_scc0 label_03EC                                  // 000000002B94: BF840006
	s_add_u32 s87, s21, s87                                    // 000000002B98: 80575715
	s_mov_b32 s22, s59                                         // 000000002B9C: BE96003B
	s_cmp_eq_u32 s59, -1                                       // 000000002BA0: BF06C13B
	s_cselect_b32 s21, 1, 0                                    // 000000002BA4: 85158081
	s_cbranch_scc0 label_03EC                                  // 000000002BA8: BF840001
	s_add_u32 s87, s21, s87                                    // 000000002BAC: 80575715

0000000000002bb0 <label_03EC>:
	s_set_gpr_idx_on s87, gpr_idx(DST)                         // 000000002BB0: BF110857
	v_writelane_b32 v25, 0, s22                                // 000000002BB4: D28A0019 00002C80
	s_set_gpr_idx_off                                          // 000000002BBC: BF9C0000
	s_mul_i32 s87, 64, s87                                     // 000000002BC0: 925757C0
	s_add_u32 s87, s22, s87                                    // 000000002BC4: 80575716
	v_writelane_b32 v31, s87, 3                                // 000000002BC8: D28A001F 00010657
	v_max_f32_e32 v41, v17, v18                                // 000000002BD0: 16522511
	v_max3_f32 v41, v41, v19, v20                              // 000000002BD4: D1D30029 04522729
	v_max_f32_e32 v42, v21, v22                                // 000000002BDC: 16542D15
	v_max3_f32 v42, v42, v23, v24                              // 000000002BE0: D1D3002A 04622F2A
	v_max_f32_e32 v43, v25, v26                                // 000000002BE8: 16563519
	v_max3_f32 v43, v43, v27, v28                              // 000000002BEC: D1D3002B 0472372B
	v_max_f32_dpp v4, v41, v41 quad_perm:[1,0,3,2] row_mask:0xf bank_mask:0xf// 000000002BF4: 160852FA FF00B129
	v_max_f32_dpp v5, v42, v42 quad_perm:[1,0,3,2] row_mask:0xf bank_mask:0xf// 000000002BFC: 160A54FA FF00B12A
	v_max_f32_dpp v6, v43, v43 quad_perm:[1,0,3,2] row_mask:0xf bank_mask:0xf// 000000002C04: 160C56FA FF00B12B
	v_max_f32_dpp v4, v4, v4 quad_perm:[2,3,0,1] row_mask:0xf bank_mask:0xf// 000000002C0C: 160808FA FF004E04
	v_max_f32_dpp v5, v5, v5 quad_perm:[2,3,0,1] row_mask:0xf bank_mask:0xf// 000000002C14: 160A0AFA FF004E05
	v_max_f32_dpp v6, v6, v6 quad_perm:[2,3,0,1] row_mask:0xf bank_mask:0xf// 000000002C1C: 160C0CFA FF004E06
	v_max_f32_dpp v4, v4, v4 row_shr:4 row_mask:0xf bank_mask:0xf// 000000002C24: 160808FA FF011404
	v_max_f32_dpp v5, v5, v5 row_shr:4 row_mask:0xf bank_mask:0xf// 000000002C2C: 160A0AFA FF011405
	v_max_f32_dpp v6, v6, v6 row_shr:4 row_mask:0xf bank_mask:0xf// 000000002C34: 160C0CFA FF011406
	v_max_f32_dpp v4, v4, v4 row_shr:8 row_mask:0xf bank_mask:0xf// 000000002C3C: 160808FA FF011804
	v_max_f32_dpp v5, v5, v5 row_shr:8 row_mask:0xf bank_mask:0xf// 000000002C44: 160A0AFA FF011805
	v_max_f32_dpp v6, v6, v6 row_shr:8 row_mask:0xf bank_mask:0xf// 000000002C4C: 160C0CFA FF011806
	v_max_f32_dpp v4, v4, v4 row_bcast:15 row_mask:0xf bank_mask:0xf// 000000002C54: 160808FA FF014204
	v_max_f32_dpp v5, v5, v5 row_bcast:15 row_mask:0xf bank_mask:0xf// 000000002C5C: 160A0AFA FF014205
	v_max_f32_dpp v6, v6, v6 row_bcast:15 row_mask:0xf bank_mask:0xf// 000000002C64: 160C0CFA FF014206
	v_max_f32_dpp v4, v4, v4 row_bcast:31 row_mask:0xf bank_mask:0xf// 000000002C6C: 160808FA FF014304
	v_max_f32_dpp v5, v5, v5 row_bcast:31 row_mask:0xf bank_mask:0xf// 000000002C74: 160A0AFA FF014305
	v_max_f32_dpp v6, v6, v6 row_bcast:31 row_mask:0xf bank_mask:0xf// 000000002C7C: 160C0CFA FF014306
	v_readlane_b32 s20, v4, 63                                 // 000000002C84: D2890014 00017F04
	v_mov_b32_e32 v41, s20                                     // 000000002C8C: 7E520214
	v_readlane_b32 s21, v5, 63                                 // 000000002C90: D2890015 00017F05
	v_mov_b32_e32 v42, s21                                     // 000000002C98: 7E540215
	v_readlane_b32 s22, v6, 63                                 // 000000002C9C: D2890016 00017F06
	v_mov_b32_e32 v43, s22                                     // 000000002CA4: 7E560216
	v_cmp_eq_f32_e64 s[24:25], v41, v17                        // 000000002CA8: D0420018 00022329
	v_cmp_eq_f32_e64 s[26:27], v41, v18                        // 000000002CB0: D042001A 00022529
	v_cmp_eq_f32_e64 s[28:29], v41, v19                        // 000000002CB8: D042001C 00022729
	v_cmp_eq_f32_e64 s[30:31], v41, v20                        // 000000002CC0: D042001E 00022929
	s_ff1_i32_b64 s48, s[24:25]                                // 000000002CC8: BEB01118
	s_ff1_i32_b64 s49, s[26:27]                                // 000000002CCC: BEB1111A
	s_ff1_i32_b64 s50, s[28:29]                                // 000000002CD0: BEB2111C
	s_ff1_i32_b64 s51, s[30:31]                                // 000000002CD4: BEB3111E
	v_cmp_eq_f32_e64 s[32:33], v42, v21                        // 000000002CD8: D0420020 00022B2A
	v_cmp_eq_f32_e64 s[34:35], v42, v22                        // 000000002CE0: D0420022 00022D2A
	v_cmp_eq_f32_e64 s[36:37], v42, v23                        // 000000002CE8: D0420024 00022F2A
	v_cmp_eq_f32_e64 s[38:39], v42, v24                        // 000000002CF0: D0420026 0002312A
	s_ff1_i32_b64 s52, s[32:33]                                // 000000002CF8: BEB41120
	s_ff1_i32_b64 s53, s[34:35]                                // 000000002CFC: BEB51122
	s_ff1_i32_b64 s54, s[36:37]                                // 000000002D00: BEB61124
	s_ff1_i32_b64 s55, s[38:39]                                // 000000002D04: BEB71126
	v_cmp_eq_f32_e64 s[40:41], v43, v25                        // 000000002D08: D0420028 0002332B
	v_cmp_eq_f32_e64 s[42:43], v43, v26                        // 000000002D10: D042002A 0002352B
	v_cmp_eq_f32_e64 s[44:45], v43, v27                        // 000000002D18: D042002C 0002372B
	v_cmp_eq_f32_e64 s[46:47], v43, v28                        // 000000002D20: D042002E 0002392B
	s_ff1_i32_b64 s56, s[40:41]                                // 000000002D28: BEB81128
	s_ff1_i32_b64 s57, s[42:43]                                // 000000002D2C: BEB9112A
	s_ff1_i32_b64 s58, s[44:45]                                // 000000002D30: BEBA112C
	s_ff1_i32_b64 s59, s[46:47]                                // 000000002D34: BEBB112E
	v_readlane_b32 s20, v41, 0                                 // 000000002D38: D2890014 00010129
	v_writelane_b32 v32, s20, 4                                // 000000002D40: D28A0020 00010814
	v_readlane_b32 s21, v42, 0                                 // 000000002D48: D2890015 0001012A
	v_writelane_b32 v33, s21, 4                                // 000000002D50: D28A0021 00010815
	v_readlane_b32 s22, v43, 0                                 // 000000002D58: D2890016 0001012B
	v_writelane_b32 v34, s22, 4                                // 000000002D60: D28A0022 00010816
	s_mov_b32 s22, s48                                         // 000000002D68: BE960030
	s_cmp_eq_u32 s48, -1                                       // 000000002D6C: BF06C130
	s_cselect_b32 s21, 1, 0                                    // 000000002D70: 85158081
	s_cbranch_scc0 label_046E                                  // 000000002D74: BF840010
	s_add_u32 s76, s21, s76                                    // 000000002D78: 804C4C15
	s_mov_b32 s22, s49                                         // 000000002D7C: BE960031
	s_cmp_eq_u32 s49, -1                                       // 000000002D80: BF06C131
	s_cselect_b32 s21, 1, 0                                    // 000000002D84: 85158081
	s_cbranch_scc0 label_046E                                  // 000000002D88: BF84000B
	s_add_u32 s76, s21, s76                                    // 000000002D8C: 804C4C15
	s_mov_b32 s22, s50                                         // 000000002D90: BE960032
	s_cmp_eq_u32 s50, -1                                       // 000000002D94: BF06C132
	s_cselect_b32 s21, 1, 0                                    // 000000002D98: 85158081
	s_cbranch_scc0 label_046E                                  // 000000002D9C: BF840006
	s_add_u32 s76, s21, s76                                    // 000000002DA0: 804C4C15
	s_mov_b32 s22, s51                                         // 000000002DA4: BE960033
	s_cmp_eq_u32 s51, -1                                       // 000000002DA8: BF06C133
	s_cselect_b32 s21, 1, 0                                    // 000000002DAC: 85158081
	s_cbranch_scc0 label_046E                                  // 000000002DB0: BF840001
	s_add_u32 s76, s21, s76                                    // 000000002DB4: 804C4C15

0000000000002db8 <label_046E>:
	s_set_gpr_idx_on s76, gpr_idx(DST)                         // 000000002DB8: BF11084C
	v_writelane_b32 v17, 0, s22                                // 000000002DBC: D28A0011 00002C80
	s_set_gpr_idx_off                                          // 000000002DC4: BF9C0000
	s_mul_i32 s76, 64, s76                                     // 000000002DC8: 924C4CC0
	s_add_u32 s76, s22, s76                                    // 000000002DCC: 804C4C16
	v_writelane_b32 v29, s76, 4                                // 000000002DD0: D28A001D 0001084C
	s_mov_b32 s22, s52                                         // 000000002DD8: BE960034
	s_cmp_eq_u32 s52, -1                                       // 000000002DDC: BF06C134
	s_cselect_b32 s21, 1, 0                                    // 000000002DE0: 85158081
	s_cbranch_scc0 label_048A                                  // 000000002DE4: BF840010
	s_add_u32 s82, s21, s82                                    // 000000002DE8: 80525215
	s_mov_b32 s22, s53                                         // 000000002DEC: BE960035
	s_cmp_eq_u32 s53, -1                                       // 000000002DF0: BF06C135
	s_cselect_b32 s21, 1, 0                                    // 000000002DF4: 85158081
	s_cbranch_scc0 label_048A                                  // 000000002DF8: BF84000B
	s_add_u32 s82, s21, s82                                    // 000000002DFC: 80525215
	s_mov_b32 s22, s54                                         // 000000002E00: BE960036
	s_cmp_eq_u32 s54, -1                                       // 000000002E04: BF06C136
	s_cselect_b32 s21, 1, 0                                    // 000000002E08: 85158081
	s_cbranch_scc0 label_048A                                  // 000000002E0C: BF840006
	s_add_u32 s82, s21, s82                                    // 000000002E10: 80525215
	s_mov_b32 s22, s55                                         // 000000002E14: BE960037
	s_cmp_eq_u32 s55, -1                                       // 000000002E18: BF06C137
	s_cselect_b32 s21, 1, 0                                    // 000000002E1C: 85158081
	s_cbranch_scc0 label_048A                                  // 000000002E20: BF840001
	s_add_u32 s82, s21, s82                                    // 000000002E24: 80525215

0000000000002e28 <label_048A>:
	s_set_gpr_idx_on s82, gpr_idx(DST)                         // 000000002E28: BF110852
	v_writelane_b32 v21, 0, s22                                // 000000002E2C: D28A0015 00002C80
	s_set_gpr_idx_off                                          // 000000002E34: BF9C0000
	s_mul_i32 s82, 64, s82                                     // 000000002E38: 925252C0
	s_add_u32 s82, s22, s82                                    // 000000002E3C: 80525216
	v_writelane_b32 v30, s82, 4                                // 000000002E40: D28A001E 00010852
	s_mov_b32 s22, s56                                         // 000000002E48: BE960038
	s_cmp_eq_u32 s56, -1                                       // 000000002E4C: BF06C138
	s_cselect_b32 s21, 1, 0                                    // 000000002E50: 85158081
	s_cbranch_scc0 label_04A6                                  // 000000002E54: BF840010
	s_add_u32 s88, s21, s88                                    // 000000002E58: 80585815
	s_mov_b32 s22, s57                                         // 000000002E5C: BE960039
	s_cmp_eq_u32 s57, -1                                       // 000000002E60: BF06C139
	s_cselect_b32 s21, 1, 0                                    // 000000002E64: 85158081
	s_cbranch_scc0 label_04A6                                  // 000000002E68: BF84000B
	s_add_u32 s88, s21, s88                                    // 000000002E6C: 80585815
	s_mov_b32 s22, s58                                         // 000000002E70: BE96003A
	s_cmp_eq_u32 s58, -1                                       // 000000002E74: BF06C13A
	s_cselect_b32 s21, 1, 0                                    // 000000002E78: 85158081
	s_cbranch_scc0 label_04A6                                  // 000000002E7C: BF840006
	s_add_u32 s88, s21, s88                                    // 000000002E80: 80585815
	s_mov_b32 s22, s59                                         // 000000002E84: BE96003B
	s_cmp_eq_u32 s59, -1                                       // 000000002E88: BF06C13B
	s_cselect_b32 s21, 1, 0                                    // 000000002E8C: 85158081
	s_cbranch_scc0 label_04A6                                  // 000000002E90: BF840001
	s_add_u32 s88, s21, s88                                    // 000000002E94: 80585815

0000000000002e98 <label_04A6>:
	s_set_gpr_idx_on s88, gpr_idx(DST)                         // 000000002E98: BF110858
	v_writelane_b32 v25, 0, s22                                // 000000002E9C: D28A0019 00002C80
	s_set_gpr_idx_off                                          // 000000002EA4: BF9C0000
	s_mul_i32 s88, 64, s88                                     // 000000002EA8: 925858C0
	s_add_u32 s88, s22, s88                                    // 000000002EAC: 80585816
	v_writelane_b32 v31, s88, 4                                // 000000002EB0: D28A001F 00010858
	v_max_f32_e32 v41, v17, v18                                // 000000002EB8: 16522511
	v_max3_f32 v41, v41, v19, v20                              // 000000002EBC: D1D30029 04522729
	v_max_f32_e32 v42, v21, v22                                // 000000002EC4: 16542D15
	v_max3_f32 v42, v42, v23, v24                              // 000000002EC8: D1D3002A 04622F2A
	v_max_f32_e32 v43, v25, v26                                // 000000002ED0: 16563519
	v_max3_f32 v43, v43, v27, v28                              // 000000002ED4: D1D3002B 0472372B
	v_max_f32_dpp v4, v41, v41 quad_perm:[1,0,3,2] row_mask:0xf bank_mask:0xf// 000000002EDC: 160852FA FF00B129
	v_max_f32_dpp v5, v42, v42 quad_perm:[1,0,3,2] row_mask:0xf bank_mask:0xf// 000000002EE4: 160A54FA FF00B12A
	v_max_f32_dpp v6, v43, v43 quad_perm:[1,0,3,2] row_mask:0xf bank_mask:0xf// 000000002EEC: 160C56FA FF00B12B
	v_max_f32_dpp v4, v4, v4 quad_perm:[2,3,0,1] row_mask:0xf bank_mask:0xf// 000000002EF4: 160808FA FF004E04
	v_max_f32_dpp v5, v5, v5 quad_perm:[2,3,0,1] row_mask:0xf bank_mask:0xf// 000000002EFC: 160A0AFA FF004E05
	v_max_f32_dpp v6, v6, v6 quad_perm:[2,3,0,1] row_mask:0xf bank_mask:0xf// 000000002F04: 160C0CFA FF004E06
	v_max_f32_dpp v4, v4, v4 row_shr:4 row_mask:0xf bank_mask:0xf// 000000002F0C: 160808FA FF011404
	v_max_f32_dpp v5, v5, v5 row_shr:4 row_mask:0xf bank_mask:0xf// 000000002F14: 160A0AFA FF011405
	v_max_f32_dpp v6, v6, v6 row_shr:4 row_mask:0xf bank_mask:0xf// 000000002F1C: 160C0CFA FF011406
	v_max_f32_dpp v4, v4, v4 row_shr:8 row_mask:0xf bank_mask:0xf// 000000002F24: 160808FA FF011804
	v_max_f32_dpp v5, v5, v5 row_shr:8 row_mask:0xf bank_mask:0xf// 000000002F2C: 160A0AFA FF011805
	v_max_f32_dpp v6, v6, v6 row_shr:8 row_mask:0xf bank_mask:0xf// 000000002F34: 160C0CFA FF011806
	v_max_f32_dpp v4, v4, v4 row_bcast:15 row_mask:0xf bank_mask:0xf// 000000002F3C: 160808FA FF014204
	v_max_f32_dpp v5, v5, v5 row_bcast:15 row_mask:0xf bank_mask:0xf// 000000002F44: 160A0AFA FF014205
	v_max_f32_dpp v6, v6, v6 row_bcast:15 row_mask:0xf bank_mask:0xf// 000000002F4C: 160C0CFA FF014206
	v_max_f32_dpp v4, v4, v4 row_bcast:31 row_mask:0xf bank_mask:0xf// 000000002F54: 160808FA FF014304
	v_max_f32_dpp v5, v5, v5 row_bcast:31 row_mask:0xf bank_mask:0xf// 000000002F5C: 160A0AFA FF014305
	v_max_f32_dpp v6, v6, v6 row_bcast:31 row_mask:0xf bank_mask:0xf// 000000002F64: 160C0CFA FF014306
	v_readlane_b32 s20, v4, 63                                 // 000000002F6C: D2890014 00017F04
	v_mov_b32_e32 v41, s20                                     // 000000002F74: 7E520214
	v_readlane_b32 s21, v5, 63                                 // 000000002F78: D2890015 00017F05
	v_mov_b32_e32 v42, s21                                     // 000000002F80: 7E540215
	v_readlane_b32 s22, v6, 63                                 // 000000002F84: D2890016 00017F06
	v_mov_b32_e32 v43, s22                                     // 000000002F8C: 7E560216
	v_cmp_eq_f32_e64 s[24:25], v41, v17                        // 000000002F90: D0420018 00022329
	v_cmp_eq_f32_e64 s[26:27], v41, v18                        // 000000002F98: D042001A 00022529
	v_cmp_eq_f32_e64 s[28:29], v41, v19                        // 000000002FA0: D042001C 00022729
	v_cmp_eq_f32_e64 s[30:31], v41, v20                        // 000000002FA8: D042001E 00022929
	s_ff1_i32_b64 s48, s[24:25]                                // 000000002FB0: BEB01118
	s_ff1_i32_b64 s49, s[26:27]                                // 000000002FB4: BEB1111A
	s_ff1_i32_b64 s50, s[28:29]                                // 000000002FB8: BEB2111C
	s_ff1_i32_b64 s51, s[30:31]                                // 000000002FBC: BEB3111E
	v_cmp_eq_f32_e64 s[32:33], v42, v21                        // 000000002FC0: D0420020 00022B2A
	v_cmp_eq_f32_e64 s[34:35], v42, v22                        // 000000002FC8: D0420022 00022D2A
	v_cmp_eq_f32_e64 s[36:37], v42, v23                        // 000000002FD0: D0420024 00022F2A
	v_cmp_eq_f32_e64 s[38:39], v42, v24                        // 000000002FD8: D0420026 0002312A
	s_ff1_i32_b64 s52, s[32:33]                                // 000000002FE0: BEB41120
	s_ff1_i32_b64 s53, s[34:35]                                // 000000002FE4: BEB51122
	s_ff1_i32_b64 s54, s[36:37]                                // 000000002FE8: BEB61124
	s_ff1_i32_b64 s55, s[38:39]                                // 000000002FEC: BEB71126
	v_cmp_eq_f32_e64 s[40:41], v43, v25                        // 000000002FF0: D0420028 0002332B
	v_cmp_eq_f32_e64 s[42:43], v43, v26                        // 000000002FF8: D042002A 0002352B
	v_cmp_eq_f32_e64 s[44:45], v43, v27                        // 000000003000: D042002C 0002372B
	v_cmp_eq_f32_e64 s[46:47], v43, v28                        // 000000003008: D042002E 0002392B
	s_ff1_i32_b64 s56, s[40:41]                                // 000000003010: BEB81128
	s_ff1_i32_b64 s57, s[42:43]                                // 000000003014: BEB9112A
	s_ff1_i32_b64 s58, s[44:45]                                // 000000003018: BEBA112C
	s_ff1_i32_b64 s59, s[46:47]                                // 00000000301C: BEBB112E
	v_readlane_b32 s20, v41, 0                                 // 000000003020: D2890014 00010129
	v_writelane_b32 v32, s20, 5                                // 000000003028: D28A0020 00010A14
	v_readlane_b32 s21, v42, 0                                 // 000000003030: D2890015 0001012A
	v_writelane_b32 v33, s21, 5                                // 000000003038: D28A0021 00010A15
	v_readlane_b32 s22, v43, 0                                 // 000000003040: D2890016 0001012B
	v_writelane_b32 v34, s22, 5                                // 000000003048: D28A0022 00010A16
	s_mov_b32 s22, s48                                         // 000000003050: BE960030
	s_cmp_eq_u32 s48, -1                                       // 000000003054: BF06C130
	s_cselect_b32 s21, 1, 0                                    // 000000003058: 85158081
	s_cbranch_scc0 label_0528                                  // 00000000305C: BF840010
	s_add_u32 s77, s21, s77                                    // 000000003060: 804D4D15
	s_mov_b32 s22, s49                                         // 000000003064: BE960031
	s_cmp_eq_u32 s49, -1                                       // 000000003068: BF06C131
	s_cselect_b32 s21, 1, 0                                    // 00000000306C: 85158081
	s_cbranch_scc0 label_0528                                  // 000000003070: BF84000B
	s_add_u32 s77, s21, s77                                    // 000000003074: 804D4D15
	s_mov_b32 s22, s50                                         // 000000003078: BE960032
	s_cmp_eq_u32 s50, -1                                       // 00000000307C: BF06C132
	s_cselect_b32 s21, 1, 0                                    // 000000003080: 85158081
	s_cbranch_scc0 label_0528                                  // 000000003084: BF840006
	s_add_u32 s77, s21, s77                                    // 000000003088: 804D4D15
	s_mov_b32 s22, s51                                         // 00000000308C: BE960033
	s_cmp_eq_u32 s51, -1                                       // 000000003090: BF06C133
	s_cselect_b32 s21, 1, 0                                    // 000000003094: 85158081
	s_cbranch_scc0 label_0528                                  // 000000003098: BF840001
	s_add_u32 s77, s21, s77                                    // 00000000309C: 804D4D15

00000000000030a0 <label_0528>:
	s_set_gpr_idx_on s77, gpr_idx(DST)                         // 0000000030A0: BF11084D
	v_writelane_b32 v17, 0, s22                                // 0000000030A4: D28A0011 00002C80
	s_set_gpr_idx_off                                          // 0000000030AC: BF9C0000
	s_mul_i32 s77, 64, s77                                     // 0000000030B0: 924D4DC0
	s_add_u32 s77, s22, s77                                    // 0000000030B4: 804D4D16
	v_writelane_b32 v29, s77, 5                                // 0000000030B8: D28A001D 00010A4D
	s_mov_b32 s22, s52                                         // 0000000030C0: BE960034
	s_cmp_eq_u32 s52, -1                                       // 0000000030C4: BF06C134
	s_cselect_b32 s21, 1, 0                                    // 0000000030C8: 85158081
	s_cbranch_scc0 label_0544                                  // 0000000030CC: BF840010
	s_add_u32 s83, s21, s83                                    // 0000000030D0: 80535315
	s_mov_b32 s22, s53                                         // 0000000030D4: BE960035
	s_cmp_eq_u32 s53, -1                                       // 0000000030D8: BF06C135
	s_cselect_b32 s21, 1, 0                                    // 0000000030DC: 85158081
	s_cbranch_scc0 label_0544                                  // 0000000030E0: BF84000B
	s_add_u32 s83, s21, s83                                    // 0000000030E4: 80535315
	s_mov_b32 s22, s54                                         // 0000000030E8: BE960036
	s_cmp_eq_u32 s54, -1                                       // 0000000030EC: BF06C136
	s_cselect_b32 s21, 1, 0                                    // 0000000030F0: 85158081
	s_cbranch_scc0 label_0544                                  // 0000000030F4: BF840006
	s_add_u32 s83, s21, s83                                    // 0000000030F8: 80535315
	s_mov_b32 s22, s55                                         // 0000000030FC: BE960037
	s_cmp_eq_u32 s55, -1                                       // 000000003100: BF06C137
	s_cselect_b32 s21, 1, 0                                    // 000000003104: 85158081
	s_cbranch_scc0 label_0544                                  // 000000003108: BF840001
	s_add_u32 s83, s21, s83                                    // 00000000310C: 80535315

0000000000003110 <label_0544>:
	s_set_gpr_idx_on s83, gpr_idx(DST)                         // 000000003110: BF110853
	v_writelane_b32 v21, 0, s22                                // 000000003114: D28A0015 00002C80
	s_set_gpr_idx_off                                          // 00000000311C: BF9C0000
	s_mul_i32 s83, 64, s83                                     // 000000003120: 925353C0
	s_add_u32 s83, s22, s83                                    // 000000003124: 80535316
	v_writelane_b32 v30, s83, 5                                // 000000003128: D28A001E 00010A53
	s_mov_b32 s22, s56                                         // 000000003130: BE960038
	s_cmp_eq_u32 s56, -1                                       // 000000003134: BF06C138
	s_cselect_b32 s21, 1, 0                                    // 000000003138: 85158081
	s_cbranch_scc0 label_0560                                  // 00000000313C: BF840010
	s_add_u32 s89, s21, s89                                    // 000000003140: 80595915
	s_mov_b32 s22, s57                                         // 000000003144: BE960039
	s_cmp_eq_u32 s57, -1                                       // 000000003148: BF06C139
	s_cselect_b32 s21, 1, 0                                    // 00000000314C: 85158081
	s_cbranch_scc0 label_0560                                  // 000000003150: BF84000B
	s_add_u32 s89, s21, s89                                    // 000000003154: 80595915
	s_mov_b32 s22, s58                                         // 000000003158: BE96003A
	s_cmp_eq_u32 s58, -1                                       // 00000000315C: BF06C13A
	s_cselect_b32 s21, 1, 0                                    // 000000003160: 85158081
	s_cbranch_scc0 label_0560                                  // 000000003164: BF840006
	s_add_u32 s89, s21, s89                                    // 000000003168: 80595915
	s_mov_b32 s22, s59                                         // 00000000316C: BE96003B
	s_cmp_eq_u32 s59, -1                                       // 000000003170: BF06C13B
	s_cselect_b32 s21, 1, 0                                    // 000000003174: 85158081
	s_cbranch_scc0 label_0560                                  // 000000003178: BF840001
	s_add_u32 s89, s21, s89                                    // 00000000317C: 80595915

0000000000003180 <label_0560>:
	s_set_gpr_idx_on s89, gpr_idx(DST)                         // 000000003180: BF110859
	v_writelane_b32 v25, 0, s22                                // 000000003184: D28A0019 00002C80
	s_set_gpr_idx_off                                          // 00000000318C: BF9C0000
	s_mul_i32 s89, 64, s89                                     // 000000003190: 925959C0
	s_add_u32 s89, s22, s89                                    // 000000003194: 80595916
	v_writelane_b32 v31, s89, 5                                // 000000003198: D28A001F 00010A59
	s_bfm_b64 exec, s18, 0                                     // 0000000031A0: 91FE8012
	buffer_store_dword v29, v11, s[4:7], 0 offen               // 0000000031A4: E0701000 80011D0B
	buffer_store_dword v30, v12, s[4:7], 0 offen               // 0000000031AC: E0701000 80011E0C
	buffer_store_dword v31, v13, s[4:7], 0 offen               // 0000000031B4: E0701000 80011F0D
	buffer_store_dword v32, v14, s[8:11], 0 offen              // 0000000031BC: E0701000 8002200E
	buffer_store_dword v33, v15, s[8:11], 0 offen              // 0000000031C4: E0701000 8002210F
	buffer_store_dword v34, v16, s[8:11], 0 offen              // 0000000031CC: E0701000 80022210
	s_branch label_09F7                                        // 0000000031D4: BF820481

00000000000031d8 <label_0576>:
	v_max_f32_e32 v41, v17, v18                                // 0000000031D8: 16522511
	v_max3_f32 v41, v41, v19, v20                              // 0000000031DC: D1D30029 04522729
	v_max_f32_e32 v42, v21, v22                                // 0000000031E4: 16542D15
	v_max3_f32 v42, v42, v23, v24                              // 0000000031E8: D1D3002A 04622F2A
	v_max_f32_e32 v43, v25, v26                                // 0000000031F0: 16563519
	v_max3_f32 v43, v43, v27, v28                              // 0000000031F4: D1D3002B 0472372B
	v_max_f32_dpp v4, v41, v41 quad_perm:[1,0,3,2] row_mask:0xf bank_mask:0xf// 0000000031FC: 160852FA FF00B129
	v_max_f32_dpp v5, v42, v42 quad_perm:[1,0,3,2] row_mask:0xf bank_mask:0xf// 000000003204: 160A54FA FF00B12A
	v_max_f32_dpp v6, v43, v43 quad_perm:[1,0,3,2] row_mask:0xf bank_mask:0xf// 00000000320C: 160C56FA FF00B12B
	v_max_f32_dpp v4, v4, v4 quad_perm:[2,3,0,1] row_mask:0xf bank_mask:0xf// 000000003214: 160808FA FF004E04
	v_max_f32_dpp v5, v5, v5 quad_perm:[2,3,0,1] row_mask:0xf bank_mask:0xf// 00000000321C: 160A0AFA FF004E05
	v_max_f32_dpp v6, v6, v6 quad_perm:[2,3,0,1] row_mask:0xf bank_mask:0xf// 000000003224: 160C0CFA FF004E06
	v_max_f32_dpp v4, v4, v4 row_shr:4 row_mask:0xf bank_mask:0xf// 00000000322C: 160808FA FF011404
	v_max_f32_dpp v5, v5, v5 row_shr:4 row_mask:0xf bank_mask:0xf// 000000003234: 160A0AFA FF011405
	v_max_f32_dpp v6, v6, v6 row_shr:4 row_mask:0xf bank_mask:0xf// 00000000323C: 160C0CFA FF011406
	v_max_f32_dpp v4, v4, v4 row_shr:8 row_mask:0xf bank_mask:0xf// 000000003244: 160808FA FF011804
	v_max_f32_dpp v5, v5, v5 row_shr:8 row_mask:0xf bank_mask:0xf// 00000000324C: 160A0AFA FF011805
	v_max_f32_dpp v6, v6, v6 row_shr:8 row_mask:0xf bank_mask:0xf// 000000003254: 160C0CFA FF011806
	v_max_f32_dpp v4, v4, v4 row_bcast:15 row_mask:0xf bank_mask:0xf// 00000000325C: 160808FA FF014204
	v_max_f32_dpp v5, v5, v5 row_bcast:15 row_mask:0xf bank_mask:0xf// 000000003264: 160A0AFA FF014205
	v_max_f32_dpp v6, v6, v6 row_bcast:15 row_mask:0xf bank_mask:0xf// 00000000326C: 160C0CFA FF014206
	v_max_f32_dpp v4, v4, v4 row_bcast:31 row_mask:0xf bank_mask:0xf// 000000003274: 160808FA FF014304
	v_max_f32_dpp v5, v5, v5 row_bcast:31 row_mask:0xf bank_mask:0xf// 00000000327C: 160A0AFA FF014305
	v_max_f32_dpp v6, v6, v6 row_bcast:31 row_mask:0xf bank_mask:0xf// 000000003284: 160C0CFA FF014306
	v_readlane_b32 s20, v4, 63                                 // 00000000328C: D2890014 00017F04
	v_mov_b32_e32 v41, s20                                     // 000000003294: 7E520214
	v_readlane_b32 s21, v5, 63                                 // 000000003298: D2890015 00017F05
	v_mov_b32_e32 v42, s21                                     // 0000000032A0: 7E540215
	v_readlane_b32 s22, v6, 63                                 // 0000000032A4: D2890016 00017F06
	v_mov_b32_e32 v43, s22                                     // 0000000032AC: 7E560216
	v_add_f32_e32 v47, v47, v41                                // 0000000032B0: 025E532F
	v_add_f32_e32 v48, v48, v42                                // 0000000032B4: 02605530
	v_add_f32_e32 v49, v49, v43                                // 0000000032B8: 02625731
	v_cmp_eq_f32_e64 s[24:25], v41, v17                        // 0000000032BC: D0420018 00022329
	v_cmp_eq_f32_e64 s[26:27], v41, v18                        // 0000000032C4: D042001A 00022529
	v_cmp_eq_f32_e64 s[28:29], v41, v19                        // 0000000032CC: D042001C 00022729
	v_cmp_eq_f32_e64 s[30:31], v41, v20                        // 0000000032D4: D042001E 00022929
	s_ff1_i32_b64 s48, s[24:25]                                // 0000000032DC: BEB01118
	s_ff1_i32_b64 s49, s[26:27]                                // 0000000032E0: BEB1111A
	s_ff1_i32_b64 s50, s[28:29]                                // 0000000032E4: BEB2111C
	s_ff1_i32_b64 s51, s[30:31]                                // 0000000032E8: BEB3111E
	v_cmp_eq_f32_e64 s[32:33], v42, v21                        // 0000000032EC: D0420020 00022B2A
	v_cmp_eq_f32_e64 s[34:35], v42, v22                        // 0000000032F4: D0420022 00022D2A
	v_cmp_eq_f32_e64 s[36:37], v42, v23                        // 0000000032FC: D0420024 00022F2A
	v_cmp_eq_f32_e64 s[38:39], v42, v24                        // 000000003304: D0420026 0002312A
	s_ff1_i32_b64 s52, s[32:33]                                // 00000000330C: BEB41120
	s_ff1_i32_b64 s53, s[34:35]                                // 000000003310: BEB51122
	s_ff1_i32_b64 s54, s[36:37]                                // 000000003314: BEB61124
	s_ff1_i32_b64 s55, s[38:39]                                // 000000003318: BEB71126
	v_cmp_eq_f32_e64 s[40:41], v43, v25                        // 00000000331C: D0420028 0002332B
	v_cmp_eq_f32_e64 s[42:43], v43, v26                        // 000000003324: D042002A 0002352B
	v_cmp_eq_f32_e64 s[44:45], v43, v27                        // 00000000332C: D042002C 0002372B
	v_cmp_eq_f32_e64 s[46:47], v43, v28                        // 000000003334: D042002E 0002392B
	s_ff1_i32_b64 s56, s[40:41]                                // 00000000333C: BEB81128
	s_ff1_i32_b64 s57, s[42:43]                                // 000000003340: BEB9112A
	s_ff1_i32_b64 s58, s[44:45]                                // 000000003344: BEBA112C
	s_ff1_i32_b64 s59, s[46:47]                                // 000000003348: BEBB112E
	v_readlane_b32 s20, v41, 0                                 // 00000000334C: D2890014 00010129
	v_writelane_b32 v32, s20, 0                                // 000000003354: D28A0020 00010014
	v_readlane_b32 s21, v42, 0                                 // 00000000335C: D2890015 0001012A
	v_writelane_b32 v33, s21, 0                                // 000000003364: D28A0021 00010015
	v_readlane_b32 s22, v43, 0                                 // 00000000336C: D2890016 0001012B
	v_writelane_b32 v34, s22, 0                                // 000000003374: D28A0022 00010016
	s_mov_b32 s22, s48                                         // 00000000337C: BE960030
	s_cmp_eq_u32 s48, -1                                       // 000000003380: BF06C130
	s_cselect_b32 s21, 1, 0                                    // 000000003384: 85158081
	s_cbranch_scc0 label_05F3                                  // 000000003388: BF840010
	s_add_u32 s72, s21, s72                                    // 00000000338C: 80484815
	s_mov_b32 s22, s49                                         // 000000003390: BE960031
	s_cmp_eq_u32 s49, -1                                       // 000000003394: BF06C131
	s_cselect_b32 s21, 1, 0                                    // 000000003398: 85158081
	s_cbranch_scc0 label_05F3                                  // 00000000339C: BF84000B
	s_add_u32 s72, s21, s72                                    // 0000000033A0: 80484815
	s_mov_b32 s22, s50                                         // 0000000033A4: BE960032
	s_cmp_eq_u32 s50, -1                                       // 0000000033A8: BF06C132
	s_cselect_b32 s21, 1, 0                                    // 0000000033AC: 85158081
	s_cbranch_scc0 label_05F3                                  // 0000000033B0: BF840006
	s_add_u32 s72, s21, s72                                    // 0000000033B4: 80484815
	s_mov_b32 s22, s51                                         // 0000000033B8: BE960033
	s_cmp_eq_u32 s51, -1                                       // 0000000033BC: BF06C133
	s_cselect_b32 s21, 1, 0                                    // 0000000033C0: 85158081
	s_cbranch_scc0 label_05F3                                  // 0000000033C4: BF840001
	s_add_u32 s72, s21, s72                                    // 0000000033C8: 80484815

00000000000033cc <label_05F3>:
	s_set_gpr_idx_on s72, gpr_idx(DST)                         // 0000000033CC: BF110848
	v_writelane_b32 v17, 0, s22                                // 0000000033D0: D28A0011 00002C80
	s_set_gpr_idx_off                                          // 0000000033D8: BF9C0000
	s_mul_i32 s72, 64, s72                                     // 0000000033DC: 924848C0
	s_add_u32 s72, s22, s72                                    // 0000000033E0: 80484816
	v_writelane_b32 v29, s72, 0                                // 0000000033E4: D28A001D 00010048
	s_mov_b32 s22, s52                                         // 0000000033EC: BE960034
	s_cmp_eq_u32 s52, -1                                       // 0000000033F0: BF06C134
	s_cselect_b32 s21, 1, 0                                    // 0000000033F4: 85158081
	s_cbranch_scc0 label_060F                                  // 0000000033F8: BF840010
	s_add_u32 s78, s21, s78                                    // 0000000033FC: 804E4E15
	s_mov_b32 s22, s53                                         // 000000003400: BE960035
	s_cmp_eq_u32 s53, -1                                       // 000000003404: BF06C135
	s_cselect_b32 s21, 1, 0                                    // 000000003408: 85158081
	s_cbranch_scc0 label_060F                                  // 00000000340C: BF84000B
	s_add_u32 s78, s21, s78                                    // 000000003410: 804E4E15
	s_mov_b32 s22, s54                                         // 000000003414: BE960036
	s_cmp_eq_u32 s54, -1                                       // 000000003418: BF06C136
	s_cselect_b32 s21, 1, 0                                    // 00000000341C: 85158081
	s_cbranch_scc0 label_060F                                  // 000000003420: BF840006
	s_add_u32 s78, s21, s78                                    // 000000003424: 804E4E15
	s_mov_b32 s22, s55                                         // 000000003428: BE960037
	s_cmp_eq_u32 s55, -1                                       // 00000000342C: BF06C137
	s_cselect_b32 s21, 1, 0                                    // 000000003430: 85158081
	s_cbranch_scc0 label_060F                                  // 000000003434: BF840001
	s_add_u32 s78, s21, s78                                    // 000000003438: 804E4E15

000000000000343c <label_060F>:
	s_set_gpr_idx_on s78, gpr_idx(DST)                         // 00000000343C: BF11084E
	v_writelane_b32 v21, 0, s22                                // 000000003440: D28A0015 00002C80
	s_set_gpr_idx_off                                          // 000000003448: BF9C0000
	s_mul_i32 s78, 64, s78                                     // 00000000344C: 924E4EC0
	s_add_u32 s78, s22, s78                                    // 000000003450: 804E4E16
	v_writelane_b32 v30, s78, 0                                // 000000003454: D28A001E 0001004E
	s_mov_b32 s22, s56                                         // 00000000345C: BE960038
	s_cmp_eq_u32 s56, -1                                       // 000000003460: BF06C138
	s_cselect_b32 s21, 1, 0                                    // 000000003464: 85158081
	s_cbranch_scc0 label_062B                                  // 000000003468: BF840010
	s_add_u32 s84, s21, s84                                    // 00000000346C: 80545415
	s_mov_b32 s22, s57                                         // 000000003470: BE960039
	s_cmp_eq_u32 s57, -1                                       // 000000003474: BF06C139
	s_cselect_b32 s21, 1, 0                                    // 000000003478: 85158081
	s_cbranch_scc0 label_062B                                  // 00000000347C: BF84000B
	s_add_u32 s84, s21, s84                                    // 000000003480: 80545415
	s_mov_b32 s22, s58                                         // 000000003484: BE96003A
	s_cmp_eq_u32 s58, -1                                       // 000000003488: BF06C13A
	s_cselect_b32 s21, 1, 0                                    // 00000000348C: 85158081
	s_cbranch_scc0 label_062B                                  // 000000003490: BF840006
	s_add_u32 s84, s21, s84                                    // 000000003494: 80545415
	s_mov_b32 s22, s59                                         // 000000003498: BE96003B
	s_cmp_eq_u32 s59, -1                                       // 00000000349C: BF06C13B
	s_cselect_b32 s21, 1, 0                                    // 0000000034A0: 85158081
	s_cbranch_scc0 label_062B                                  // 0000000034A4: BF840001
	s_add_u32 s84, s21, s84                                    // 0000000034A8: 80545415

00000000000034ac <label_062B>:
	s_set_gpr_idx_on s84, gpr_idx(DST)                         // 0000000034AC: BF110854
	v_writelane_b32 v25, 0, s22                                // 0000000034B0: D28A0019 00002C80
	s_set_gpr_idx_off                                          // 0000000034B8: BF9C0000
	s_mul_i32 s84, 64, s84                                     // 0000000034BC: 925454C0
	s_add_u32 s84, s22, s84                                    // 0000000034C0: 80545416
	v_writelane_b32 v31, s84, 0                                // 0000000034C4: D28A001F 00010054
	v_max_f32_e32 v41, v17, v18                                // 0000000034CC: 16522511
	v_max3_f32 v41, v41, v19, v20                              // 0000000034D0: D1D30029 04522729
	v_max_f32_e32 v42, v21, v22                                // 0000000034D8: 16542D15
	v_max3_f32 v42, v42, v23, v24                              // 0000000034DC: D1D3002A 04622F2A
	v_max_f32_e32 v43, v25, v26                                // 0000000034E4: 16563519
	v_max3_f32 v43, v43, v27, v28                              // 0000000034E8: D1D3002B 0472372B
	v_max_f32_dpp v4, v41, v41 quad_perm:[1,0,3,2] row_mask:0xf bank_mask:0xf// 0000000034F0: 160852FA FF00B129
	v_max_f32_dpp v5, v42, v42 quad_perm:[1,0,3,2] row_mask:0xf bank_mask:0xf// 0000000034F8: 160A54FA FF00B12A
	v_max_f32_dpp v6, v43, v43 quad_perm:[1,0,3,2] row_mask:0xf bank_mask:0xf// 000000003500: 160C56FA FF00B12B
	v_max_f32_dpp v4, v4, v4 quad_perm:[2,3,0,1] row_mask:0xf bank_mask:0xf// 000000003508: 160808FA FF004E04
	v_max_f32_dpp v5, v5, v5 quad_perm:[2,3,0,1] row_mask:0xf bank_mask:0xf// 000000003510: 160A0AFA FF004E05
	v_max_f32_dpp v6, v6, v6 quad_perm:[2,3,0,1] row_mask:0xf bank_mask:0xf// 000000003518: 160C0CFA FF004E06
	v_max_f32_dpp v4, v4, v4 row_shr:4 row_mask:0xf bank_mask:0xf// 000000003520: 160808FA FF011404
	v_max_f32_dpp v5, v5, v5 row_shr:4 row_mask:0xf bank_mask:0xf// 000000003528: 160A0AFA FF011405
	v_max_f32_dpp v6, v6, v6 row_shr:4 row_mask:0xf bank_mask:0xf// 000000003530: 160C0CFA FF011406
	v_max_f32_dpp v4, v4, v4 row_shr:8 row_mask:0xf bank_mask:0xf// 000000003538: 160808FA FF011804
	v_max_f32_dpp v5, v5, v5 row_shr:8 row_mask:0xf bank_mask:0xf// 000000003540: 160A0AFA FF011805
	v_max_f32_dpp v6, v6, v6 row_shr:8 row_mask:0xf bank_mask:0xf// 000000003548: 160C0CFA FF011806
	v_max_f32_dpp v4, v4, v4 row_bcast:15 row_mask:0xf bank_mask:0xf// 000000003550: 160808FA FF014204
	v_max_f32_dpp v5, v5, v5 row_bcast:15 row_mask:0xf bank_mask:0xf// 000000003558: 160A0AFA FF014205
	v_max_f32_dpp v6, v6, v6 row_bcast:15 row_mask:0xf bank_mask:0xf// 000000003560: 160C0CFA FF014206
	v_max_f32_dpp v4, v4, v4 row_bcast:31 row_mask:0xf bank_mask:0xf// 000000003568: 160808FA FF014304
	v_max_f32_dpp v5, v5, v5 row_bcast:31 row_mask:0xf bank_mask:0xf// 000000003570: 160A0AFA FF014305
	v_max_f32_dpp v6, v6, v6 row_bcast:31 row_mask:0xf bank_mask:0xf// 000000003578: 160C0CFA FF014306
	v_readlane_b32 s20, v4, 63                                 // 000000003580: D2890014 00017F04
	v_mov_b32_e32 v41, s20                                     // 000000003588: 7E520214
	v_readlane_b32 s21, v5, 63                                 // 00000000358C: D2890015 00017F05
	v_mov_b32_e32 v42, s21                                     // 000000003594: 7E540215
	v_readlane_b32 s22, v6, 63                                 // 000000003598: D2890016 00017F06
	v_mov_b32_e32 v43, s22                                     // 0000000035A0: 7E560216
	v_add_f32_e32 v47, v47, v41                                // 0000000035A4: 025E532F
	v_add_f32_e32 v48, v48, v42                                // 0000000035A8: 02605530
	v_add_f32_e32 v49, v49, v43                                // 0000000035AC: 02625731
	v_cmp_eq_f32_e64 s[24:25], v41, v17                        // 0000000035B0: D0420018 00022329
	v_cmp_eq_f32_e64 s[26:27], v41, v18                        // 0000000035B8: D042001A 00022529
	v_cmp_eq_f32_e64 s[28:29], v41, v19                        // 0000000035C0: D042001C 00022729
	v_cmp_eq_f32_e64 s[30:31], v41, v20                        // 0000000035C8: D042001E 00022929
	s_ff1_i32_b64 s48, s[24:25]                                // 0000000035D0: BEB01118
	s_ff1_i32_b64 s49, s[26:27]                                // 0000000035D4: BEB1111A
	s_ff1_i32_b64 s50, s[28:29]                                // 0000000035D8: BEB2111C
	s_ff1_i32_b64 s51, s[30:31]                                // 0000000035DC: BEB3111E
	v_cmp_eq_f32_e64 s[32:33], v42, v21                        // 0000000035E0: D0420020 00022B2A
	v_cmp_eq_f32_e64 s[34:35], v42, v22                        // 0000000035E8: D0420022 00022D2A
	v_cmp_eq_f32_e64 s[36:37], v42, v23                        // 0000000035F0: D0420024 00022F2A
	v_cmp_eq_f32_e64 s[38:39], v42, v24                        // 0000000035F8: D0420026 0002312A
	s_ff1_i32_b64 s52, s[32:33]                                // 000000003600: BEB41120
	s_ff1_i32_b64 s53, s[34:35]                                // 000000003604: BEB51122
	s_ff1_i32_b64 s54, s[36:37]                                // 000000003608: BEB61124
	s_ff1_i32_b64 s55, s[38:39]                                // 00000000360C: BEB71126
	v_cmp_eq_f32_e64 s[40:41], v43, v25                        // 000000003610: D0420028 0002332B
	v_cmp_eq_f32_e64 s[42:43], v43, v26                        // 000000003618: D042002A 0002352B
	v_cmp_eq_f32_e64 s[44:45], v43, v27                        // 000000003620: D042002C 0002372B
	v_cmp_eq_f32_e64 s[46:47], v43, v28                        // 000000003628: D042002E 0002392B
	s_ff1_i32_b64 s56, s[40:41]                                // 000000003630: BEB81128
	s_ff1_i32_b64 s57, s[42:43]                                // 000000003634: BEB9112A
	s_ff1_i32_b64 s58, s[44:45]                                // 000000003638: BEBA112C
	s_ff1_i32_b64 s59, s[46:47]                                // 00000000363C: BEBB112E
	v_readlane_b32 s20, v41, 0                                 // 000000003640: D2890014 00010129
	v_writelane_b32 v32, s20, 1                                // 000000003648: D28A0020 00010214
	v_readlane_b32 s21, v42, 0                                 // 000000003650: D2890015 0001012A
	v_writelane_b32 v33, s21, 1                                // 000000003658: D28A0021 00010215
	v_readlane_b32 s22, v43, 0                                 // 000000003660: D2890016 0001012B
	v_writelane_b32 v34, s22, 1                                // 000000003668: D28A0022 00010216
	s_mov_b32 s22, s48                                         // 000000003670: BE960030
	s_cmp_eq_u32 s48, -1                                       // 000000003674: BF06C130
	s_cselect_b32 s21, 1, 0                                    // 000000003678: 85158081
	s_cbranch_scc0 label_06B0                                  // 00000000367C: BF840010
	s_add_u32 s73, s21, s73                                    // 000000003680: 80494915
	s_mov_b32 s22, s49                                         // 000000003684: BE960031
	s_cmp_eq_u32 s49, -1                                       // 000000003688: BF06C131
	s_cselect_b32 s21, 1, 0                                    // 00000000368C: 85158081
	s_cbranch_scc0 label_06B0                                  // 000000003690: BF84000B
	s_add_u32 s73, s21, s73                                    // 000000003694: 80494915
	s_mov_b32 s22, s50                                         // 000000003698: BE960032
	s_cmp_eq_u32 s50, -1                                       // 00000000369C: BF06C132
	s_cselect_b32 s21, 1, 0                                    // 0000000036A0: 85158081
	s_cbranch_scc0 label_06B0                                  // 0000000036A4: BF840006
	s_add_u32 s73, s21, s73                                    // 0000000036A8: 80494915
	s_mov_b32 s22, s51                                         // 0000000036AC: BE960033
	s_cmp_eq_u32 s51, -1                                       // 0000000036B0: BF06C133
	s_cselect_b32 s21, 1, 0                                    // 0000000036B4: 85158081
	s_cbranch_scc0 label_06B0                                  // 0000000036B8: BF840001
	s_add_u32 s73, s21, s73                                    // 0000000036BC: 80494915

00000000000036c0 <label_06B0>:
	s_set_gpr_idx_on s73, gpr_idx(DST)                         // 0000000036C0: BF110849
	v_writelane_b32 v17, 0, s22                                // 0000000036C4: D28A0011 00002C80
	s_set_gpr_idx_off                                          // 0000000036CC: BF9C0000
	s_mul_i32 s73, 64, s73                                     // 0000000036D0: 924949C0
	s_add_u32 s73, s22, s73                                    // 0000000036D4: 80494916
	v_writelane_b32 v29, s73, 1                                // 0000000036D8: D28A001D 00010249
	s_mov_b32 s22, s52                                         // 0000000036E0: BE960034
	s_cmp_eq_u32 s52, -1                                       // 0000000036E4: BF06C134
	s_cselect_b32 s21, 1, 0                                    // 0000000036E8: 85158081
	s_cbranch_scc0 label_06CC                                  // 0000000036EC: BF840010
	s_add_u32 s79, s21, s79                                    // 0000000036F0: 804F4F15
	s_mov_b32 s22, s53                                         // 0000000036F4: BE960035
	s_cmp_eq_u32 s53, -1                                       // 0000000036F8: BF06C135
	s_cselect_b32 s21, 1, 0                                    // 0000000036FC: 85158081
	s_cbranch_scc0 label_06CC                                  // 000000003700: BF84000B
	s_add_u32 s79, s21, s79                                    // 000000003704: 804F4F15
	s_mov_b32 s22, s54                                         // 000000003708: BE960036
	s_cmp_eq_u32 s54, -1                                       // 00000000370C: BF06C136
	s_cselect_b32 s21, 1, 0                                    // 000000003710: 85158081
	s_cbranch_scc0 label_06CC                                  // 000000003714: BF840006
	s_add_u32 s79, s21, s79                                    // 000000003718: 804F4F15
	s_mov_b32 s22, s55                                         // 00000000371C: BE960037
	s_cmp_eq_u32 s55, -1                                       // 000000003720: BF06C137
	s_cselect_b32 s21, 1, 0                                    // 000000003724: 85158081
	s_cbranch_scc0 label_06CC                                  // 000000003728: BF840001
	s_add_u32 s79, s21, s79                                    // 00000000372C: 804F4F15

0000000000003730 <label_06CC>:
	s_set_gpr_idx_on s79, gpr_idx(DST)                         // 000000003730: BF11084F
	v_writelane_b32 v21, 0, s22                                // 000000003734: D28A0015 00002C80
	s_set_gpr_idx_off                                          // 00000000373C: BF9C0000
	s_mul_i32 s79, 64, s79                                     // 000000003740: 924F4FC0
	s_add_u32 s79, s22, s79                                    // 000000003744: 804F4F16
	v_writelane_b32 v30, s79, 1                                // 000000003748: D28A001E 0001024F
	s_mov_b32 s22, s56                                         // 000000003750: BE960038
	s_cmp_eq_u32 s56, -1                                       // 000000003754: BF06C138
	s_cselect_b32 s21, 1, 0                                    // 000000003758: 85158081
	s_cbranch_scc0 label_06E8                                  // 00000000375C: BF840010
	s_add_u32 s85, s21, s85                                    // 000000003760: 80555515
	s_mov_b32 s22, s57                                         // 000000003764: BE960039
	s_cmp_eq_u32 s57, -1                                       // 000000003768: BF06C139
	s_cselect_b32 s21, 1, 0                                    // 00000000376C: 85158081
	s_cbranch_scc0 label_06E8                                  // 000000003770: BF84000B
	s_add_u32 s85, s21, s85                                    // 000000003774: 80555515
	s_mov_b32 s22, s58                                         // 000000003778: BE96003A
	s_cmp_eq_u32 s58, -1                                       // 00000000377C: BF06C13A
	s_cselect_b32 s21, 1, 0                                    // 000000003780: 85158081
	s_cbranch_scc0 label_06E8                                  // 000000003784: BF840006
	s_add_u32 s85, s21, s85                                    // 000000003788: 80555515
	s_mov_b32 s22, s59                                         // 00000000378C: BE96003B
	s_cmp_eq_u32 s59, -1                                       // 000000003790: BF06C13B
	s_cselect_b32 s21, 1, 0                                    // 000000003794: 85158081
	s_cbranch_scc0 label_06E8                                  // 000000003798: BF840001
	s_add_u32 s85, s21, s85                                    // 00000000379C: 80555515

00000000000037a0 <label_06E8>:
	s_set_gpr_idx_on s85, gpr_idx(DST)                         // 0000000037A0: BF110855
	v_writelane_b32 v25, 0, s22                                // 0000000037A4: D28A0019 00002C80
	s_set_gpr_idx_off                                          // 0000000037AC: BF9C0000
	s_mul_i32 s85, 64, s85                                     // 0000000037B0: 925555C0
	s_add_u32 s85, s22, s85                                    // 0000000037B4: 80555516
	v_writelane_b32 v31, s85, 1                                // 0000000037B8: D28A001F 00010255
	v_max_f32_e32 v41, v17, v18                                // 0000000037C0: 16522511
	v_max3_f32 v41, v41, v19, v20                              // 0000000037C4: D1D30029 04522729
	v_max_f32_e32 v42, v21, v22                                // 0000000037CC: 16542D15
	v_max3_f32 v42, v42, v23, v24                              // 0000000037D0: D1D3002A 04622F2A
	v_max_f32_e32 v43, v25, v26                                // 0000000037D8: 16563519
	v_max3_f32 v43, v43, v27, v28                              // 0000000037DC: D1D3002B 0472372B
	v_max_f32_dpp v4, v41, v41 quad_perm:[1,0,3,2] row_mask:0xf bank_mask:0xf// 0000000037E4: 160852FA FF00B129
	v_max_f32_dpp v5, v42, v42 quad_perm:[1,0,3,2] row_mask:0xf bank_mask:0xf// 0000000037EC: 160A54FA FF00B12A
	v_max_f32_dpp v6, v43, v43 quad_perm:[1,0,3,2] row_mask:0xf bank_mask:0xf// 0000000037F4: 160C56FA FF00B12B
	v_max_f32_dpp v4, v4, v4 quad_perm:[2,3,0,1] row_mask:0xf bank_mask:0xf// 0000000037FC: 160808FA FF004E04
	v_max_f32_dpp v5, v5, v5 quad_perm:[2,3,0,1] row_mask:0xf bank_mask:0xf// 000000003804: 160A0AFA FF004E05
	v_max_f32_dpp v6, v6, v6 quad_perm:[2,3,0,1] row_mask:0xf bank_mask:0xf// 00000000380C: 160C0CFA FF004E06
	v_max_f32_dpp v4, v4, v4 row_shr:4 row_mask:0xf bank_mask:0xf// 000000003814: 160808FA FF011404
	v_max_f32_dpp v5, v5, v5 row_shr:4 row_mask:0xf bank_mask:0xf// 00000000381C: 160A0AFA FF011405
	v_max_f32_dpp v6, v6, v6 row_shr:4 row_mask:0xf bank_mask:0xf// 000000003824: 160C0CFA FF011406
	v_max_f32_dpp v4, v4, v4 row_shr:8 row_mask:0xf bank_mask:0xf// 00000000382C: 160808FA FF011804
	v_max_f32_dpp v5, v5, v5 row_shr:8 row_mask:0xf bank_mask:0xf// 000000003834: 160A0AFA FF011805
	v_max_f32_dpp v6, v6, v6 row_shr:8 row_mask:0xf bank_mask:0xf// 00000000383C: 160C0CFA FF011806
	v_max_f32_dpp v4, v4, v4 row_bcast:15 row_mask:0xf bank_mask:0xf// 000000003844: 160808FA FF014204
	v_max_f32_dpp v5, v5, v5 row_bcast:15 row_mask:0xf bank_mask:0xf// 00000000384C: 160A0AFA FF014205
	v_max_f32_dpp v6, v6, v6 row_bcast:15 row_mask:0xf bank_mask:0xf// 000000003854: 160C0CFA FF014206
	v_max_f32_dpp v4, v4, v4 row_bcast:31 row_mask:0xf bank_mask:0xf// 00000000385C: 160808FA FF014304
	v_max_f32_dpp v5, v5, v5 row_bcast:31 row_mask:0xf bank_mask:0xf// 000000003864: 160A0AFA FF014305
	v_max_f32_dpp v6, v6, v6 row_bcast:31 row_mask:0xf bank_mask:0xf// 00000000386C: 160C0CFA FF014306
	v_readlane_b32 s20, v4, 63                                 // 000000003874: D2890014 00017F04
	v_mov_b32_e32 v41, s20                                     // 00000000387C: 7E520214
	v_readlane_b32 s21, v5, 63                                 // 000000003880: D2890015 00017F05
	v_mov_b32_e32 v42, s21                                     // 000000003888: 7E540215
	v_readlane_b32 s22, v6, 63                                 // 00000000388C: D2890016 00017F06
	v_mov_b32_e32 v43, s22                                     // 000000003894: 7E560216
	v_add_f32_e32 v47, v47, v41                                // 000000003898: 025E532F
	v_add_f32_e32 v48, v48, v42                                // 00000000389C: 02605530
	v_add_f32_e32 v49, v49, v43                                // 0000000038A0: 02625731
	v_cmp_eq_f32_e64 s[24:25], v41, v17                        // 0000000038A4: D0420018 00022329
	v_cmp_eq_f32_e64 s[26:27], v41, v18                        // 0000000038AC: D042001A 00022529
	v_cmp_eq_f32_e64 s[28:29], v41, v19                        // 0000000038B4: D042001C 00022729
	v_cmp_eq_f32_e64 s[30:31], v41, v20                        // 0000000038BC: D042001E 00022929
	s_ff1_i32_b64 s48, s[24:25]                                // 0000000038C4: BEB01118
	s_ff1_i32_b64 s49, s[26:27]                                // 0000000038C8: BEB1111A
	s_ff1_i32_b64 s50, s[28:29]                                // 0000000038CC: BEB2111C
	s_ff1_i32_b64 s51, s[30:31]                                // 0000000038D0: BEB3111E
	v_cmp_eq_f32_e64 s[32:33], v42, v21                        // 0000000038D4: D0420020 00022B2A
	v_cmp_eq_f32_e64 s[34:35], v42, v22                        // 0000000038DC: D0420022 00022D2A
	v_cmp_eq_f32_e64 s[36:37], v42, v23                        // 0000000038E4: D0420024 00022F2A
	v_cmp_eq_f32_e64 s[38:39], v42, v24                        // 0000000038EC: D0420026 0002312A
	s_ff1_i32_b64 s52, s[32:33]                                // 0000000038F4: BEB41120
	s_ff1_i32_b64 s53, s[34:35]                                // 0000000038F8: BEB51122
	s_ff1_i32_b64 s54, s[36:37]                                // 0000000038FC: BEB61124
	s_ff1_i32_b64 s55, s[38:39]                                // 000000003900: BEB71126
	v_cmp_eq_f32_e64 s[40:41], v43, v25                        // 000000003904: D0420028 0002332B
	v_cmp_eq_f32_e64 s[42:43], v43, v26                        // 00000000390C: D042002A 0002352B
	v_cmp_eq_f32_e64 s[44:45], v43, v27                        // 000000003914: D042002C 0002372B
	v_cmp_eq_f32_e64 s[46:47], v43, v28                        // 00000000391C: D042002E 0002392B
	s_ff1_i32_b64 s56, s[40:41]                                // 000000003924: BEB81128
	s_ff1_i32_b64 s57, s[42:43]                                // 000000003928: BEB9112A
	s_ff1_i32_b64 s58, s[44:45]                                // 00000000392C: BEBA112C
	s_ff1_i32_b64 s59, s[46:47]                                // 000000003930: BEBB112E
	v_readlane_b32 s20, v41, 0                                 // 000000003934: D2890014 00010129
	v_writelane_b32 v32, s20, 2                                // 00000000393C: D28A0020 00010414
	v_readlane_b32 s21, v42, 0                                 // 000000003944: D2890015 0001012A
	v_writelane_b32 v33, s21, 2                                // 00000000394C: D28A0021 00010415
	v_readlane_b32 s22, v43, 0                                 // 000000003954: D2890016 0001012B
	v_writelane_b32 v34, s22, 2                                // 00000000395C: D28A0022 00010416
	s_mov_b32 s22, s48                                         // 000000003964: BE960030
	s_cmp_eq_u32 s48, -1                                       // 000000003968: BF06C130
	s_cselect_b32 s21, 1, 0                                    // 00000000396C: 85158081
	s_cbranch_scc0 label_076D                                  // 000000003970: BF840010
	s_add_u32 s74, s21, s74                                    // 000000003974: 804A4A15
	s_mov_b32 s22, s49                                         // 000000003978: BE960031
	s_cmp_eq_u32 s49, -1                                       // 00000000397C: BF06C131
	s_cselect_b32 s21, 1, 0                                    // 000000003980: 85158081
	s_cbranch_scc0 label_076D                                  // 000000003984: BF84000B
	s_add_u32 s74, s21, s74                                    // 000000003988: 804A4A15
	s_mov_b32 s22, s50                                         // 00000000398C: BE960032
	s_cmp_eq_u32 s50, -1                                       // 000000003990: BF06C132
	s_cselect_b32 s21, 1, 0                                    // 000000003994: 85158081
	s_cbranch_scc0 label_076D                                  // 000000003998: BF840006
	s_add_u32 s74, s21, s74                                    // 00000000399C: 804A4A15
	s_mov_b32 s22, s51                                         // 0000000039A0: BE960033
	s_cmp_eq_u32 s51, -1                                       // 0000000039A4: BF06C133
	s_cselect_b32 s21, 1, 0                                    // 0000000039A8: 85158081
	s_cbranch_scc0 label_076D                                  // 0000000039AC: BF840001
	s_add_u32 s74, s21, s74                                    // 0000000039B0: 804A4A15

00000000000039b4 <label_076D>:
	s_set_gpr_idx_on s74, gpr_idx(DST)                         // 0000000039B4: BF11084A
	v_writelane_b32 v17, 0, s22                                // 0000000039B8: D28A0011 00002C80
	s_set_gpr_idx_off                                          // 0000000039C0: BF9C0000
	s_mul_i32 s74, 64, s74                                     // 0000000039C4: 924A4AC0
	s_add_u32 s74, s22, s74                                    // 0000000039C8: 804A4A16
	v_writelane_b32 v29, s74, 2                                // 0000000039CC: D28A001D 0001044A
	s_mov_b32 s22, s52                                         // 0000000039D4: BE960034
	s_cmp_eq_u32 s52, -1                                       // 0000000039D8: BF06C134
	s_cselect_b32 s21, 1, 0                                    // 0000000039DC: 85158081
	s_cbranch_scc0 label_0789                                  // 0000000039E0: BF840010
	s_add_u32 s80, s21, s80                                    // 0000000039E4: 80505015
	s_mov_b32 s22, s53                                         // 0000000039E8: BE960035
	s_cmp_eq_u32 s53, -1                                       // 0000000039EC: BF06C135
	s_cselect_b32 s21, 1, 0                                    // 0000000039F0: 85158081
	s_cbranch_scc0 label_0789                                  // 0000000039F4: BF84000B
	s_add_u32 s80, s21, s80                                    // 0000000039F8: 80505015
	s_mov_b32 s22, s54                                         // 0000000039FC: BE960036
	s_cmp_eq_u32 s54, -1                                       // 000000003A00: BF06C136
	s_cselect_b32 s21, 1, 0                                    // 000000003A04: 85158081
	s_cbranch_scc0 label_0789                                  // 000000003A08: BF840006
	s_add_u32 s80, s21, s80                                    // 000000003A0C: 80505015
	s_mov_b32 s22, s55                                         // 000000003A10: BE960037
	s_cmp_eq_u32 s55, -1                                       // 000000003A14: BF06C137
	s_cselect_b32 s21, 1, 0                                    // 000000003A18: 85158081
	s_cbranch_scc0 label_0789                                  // 000000003A1C: BF840001
	s_add_u32 s80, s21, s80                                    // 000000003A20: 80505015

0000000000003a24 <label_0789>:
	s_set_gpr_idx_on s80, gpr_idx(DST)                         // 000000003A24: BF110850
	v_writelane_b32 v21, 0, s22                                // 000000003A28: D28A0015 00002C80
	s_set_gpr_idx_off                                          // 000000003A30: BF9C0000
	s_mul_i32 s80, 64, s80                                     // 000000003A34: 925050C0
	s_add_u32 s80, s22, s80                                    // 000000003A38: 80505016
	v_writelane_b32 v30, s80, 2                                // 000000003A3C: D28A001E 00010450
	s_mov_b32 s22, s56                                         // 000000003A44: BE960038
	s_cmp_eq_u32 s56, -1                                       // 000000003A48: BF06C138
	s_cselect_b32 s21, 1, 0                                    // 000000003A4C: 85158081
	s_cbranch_scc0 label_07A5                                  // 000000003A50: BF840010
	s_add_u32 s86, s21, s86                                    // 000000003A54: 80565615
	s_mov_b32 s22, s57                                         // 000000003A58: BE960039
	s_cmp_eq_u32 s57, -1                                       // 000000003A5C: BF06C139
	s_cselect_b32 s21, 1, 0                                    // 000000003A60: 85158081
	s_cbranch_scc0 label_07A5                                  // 000000003A64: BF84000B
	s_add_u32 s86, s21, s86                                    // 000000003A68: 80565615
	s_mov_b32 s22, s58                                         // 000000003A6C: BE96003A
	s_cmp_eq_u32 s58, -1                                       // 000000003A70: BF06C13A
	s_cselect_b32 s21, 1, 0                                    // 000000003A74: 85158081
	s_cbranch_scc0 label_07A5                                  // 000000003A78: BF840006
	s_add_u32 s86, s21, s86                                    // 000000003A7C: 80565615
	s_mov_b32 s22, s59                                         // 000000003A80: BE96003B
	s_cmp_eq_u32 s59, -1                                       // 000000003A84: BF06C13B
	s_cselect_b32 s21, 1, 0                                    // 000000003A88: 85158081
	s_cbranch_scc0 label_07A5                                  // 000000003A8C: BF840001
	s_add_u32 s86, s21, s86                                    // 000000003A90: 80565615

0000000000003a94 <label_07A5>:
	s_set_gpr_idx_on s86, gpr_idx(DST)                         // 000000003A94: BF110856
	v_writelane_b32 v25, 0, s22                                // 000000003A98: D28A0019 00002C80
	s_set_gpr_idx_off                                          // 000000003AA0: BF9C0000
	s_mul_i32 s86, 64, s86                                     // 000000003AA4: 925656C0
	s_add_u32 s86, s22, s86                                    // 000000003AA8: 80565616
	v_writelane_b32 v31, s86, 2                                // 000000003AAC: D28A001F 00010456
	v_max_f32_e32 v41, v17, v18                                // 000000003AB4: 16522511
	v_max3_f32 v41, v41, v19, v20                              // 000000003AB8: D1D30029 04522729
	v_max_f32_e32 v42, v21, v22                                // 000000003AC0: 16542D15
	v_max3_f32 v42, v42, v23, v24                              // 000000003AC4: D1D3002A 04622F2A
	v_max_f32_e32 v43, v25, v26                                // 000000003ACC: 16563519
	v_max3_f32 v43, v43, v27, v28                              // 000000003AD0: D1D3002B 0472372B
	v_max_f32_dpp v4, v41, v41 quad_perm:[1,0,3,2] row_mask:0xf bank_mask:0xf// 000000003AD8: 160852FA FF00B129
	v_max_f32_dpp v5, v42, v42 quad_perm:[1,0,3,2] row_mask:0xf bank_mask:0xf// 000000003AE0: 160A54FA FF00B12A
	v_max_f32_dpp v6, v43, v43 quad_perm:[1,0,3,2] row_mask:0xf bank_mask:0xf// 000000003AE8: 160C56FA FF00B12B
	v_max_f32_dpp v4, v4, v4 quad_perm:[2,3,0,1] row_mask:0xf bank_mask:0xf// 000000003AF0: 160808FA FF004E04
	v_max_f32_dpp v5, v5, v5 quad_perm:[2,3,0,1] row_mask:0xf bank_mask:0xf// 000000003AF8: 160A0AFA FF004E05
	v_max_f32_dpp v6, v6, v6 quad_perm:[2,3,0,1] row_mask:0xf bank_mask:0xf// 000000003B00: 160C0CFA FF004E06
	v_max_f32_dpp v4, v4, v4 row_shr:4 row_mask:0xf bank_mask:0xf// 000000003B08: 160808FA FF011404
	v_max_f32_dpp v5, v5, v5 row_shr:4 row_mask:0xf bank_mask:0xf// 000000003B10: 160A0AFA FF011405
	v_max_f32_dpp v6, v6, v6 row_shr:4 row_mask:0xf bank_mask:0xf// 000000003B18: 160C0CFA FF011406
	v_max_f32_dpp v4, v4, v4 row_shr:8 row_mask:0xf bank_mask:0xf// 000000003B20: 160808FA FF011804
	v_max_f32_dpp v5, v5, v5 row_shr:8 row_mask:0xf bank_mask:0xf// 000000003B28: 160A0AFA FF011805
	v_max_f32_dpp v6, v6, v6 row_shr:8 row_mask:0xf bank_mask:0xf// 000000003B30: 160C0CFA FF011806
	v_max_f32_dpp v4, v4, v4 row_bcast:15 row_mask:0xf bank_mask:0xf// 000000003B38: 160808FA FF014204
	v_max_f32_dpp v5, v5, v5 row_bcast:15 row_mask:0xf bank_mask:0xf// 000000003B40: 160A0AFA FF014205
	v_max_f32_dpp v6, v6, v6 row_bcast:15 row_mask:0xf bank_mask:0xf// 000000003B48: 160C0CFA FF014206
	v_max_f32_dpp v4, v4, v4 row_bcast:31 row_mask:0xf bank_mask:0xf// 000000003B50: 160808FA FF014304
	v_max_f32_dpp v5, v5, v5 row_bcast:31 row_mask:0xf bank_mask:0xf// 000000003B58: 160A0AFA FF014305
	v_max_f32_dpp v6, v6, v6 row_bcast:31 row_mask:0xf bank_mask:0xf// 000000003B60: 160C0CFA FF014306
	v_readlane_b32 s20, v4, 63                                 // 000000003B68: D2890014 00017F04
	v_mov_b32_e32 v41, s20                                     // 000000003B70: 7E520214
	v_readlane_b32 s21, v5, 63                                 // 000000003B74: D2890015 00017F05
	v_mov_b32_e32 v42, s21                                     // 000000003B7C: 7E540215
	v_readlane_b32 s22, v6, 63                                 // 000000003B80: D2890016 00017F06
	v_mov_b32_e32 v43, s22                                     // 000000003B88: 7E560216
	v_add_f32_e32 v47, v47, v41                                // 000000003B8C: 025E532F
	v_add_f32_e32 v48, v48, v42                                // 000000003B90: 02605530
	v_add_f32_e32 v49, v49, v43                                // 000000003B94: 02625731
	v_cmp_eq_f32_e64 s[24:25], v41, v17                        // 000000003B98: D0420018 00022329
	v_cmp_eq_f32_e64 s[26:27], v41, v18                        // 000000003BA0: D042001A 00022529
	v_cmp_eq_f32_e64 s[28:29], v41, v19                        // 000000003BA8: D042001C 00022729
	v_cmp_eq_f32_e64 s[30:31], v41, v20                        // 000000003BB0: D042001E 00022929
	s_ff1_i32_b64 s48, s[24:25]                                // 000000003BB8: BEB01118
	s_ff1_i32_b64 s49, s[26:27]                                // 000000003BBC: BEB1111A
	s_ff1_i32_b64 s50, s[28:29]                                // 000000003BC0: BEB2111C
	s_ff1_i32_b64 s51, s[30:31]                                // 000000003BC4: BEB3111E
	v_cmp_eq_f32_e64 s[32:33], v42, v21                        // 000000003BC8: D0420020 00022B2A
	v_cmp_eq_f32_e64 s[34:35], v42, v22                        // 000000003BD0: D0420022 00022D2A
	v_cmp_eq_f32_e64 s[36:37], v42, v23                        // 000000003BD8: D0420024 00022F2A
	v_cmp_eq_f32_e64 s[38:39], v42, v24                        // 000000003BE0: D0420026 0002312A
	s_ff1_i32_b64 s52, s[32:33]                                // 000000003BE8: BEB41120
	s_ff1_i32_b64 s53, s[34:35]                                // 000000003BEC: BEB51122
	s_ff1_i32_b64 s54, s[36:37]                                // 000000003BF0: BEB61124
	s_ff1_i32_b64 s55, s[38:39]                                // 000000003BF4: BEB71126
	v_cmp_eq_f32_e64 s[40:41], v43, v25                        // 000000003BF8: D0420028 0002332B
	v_cmp_eq_f32_e64 s[42:43], v43, v26                        // 000000003C00: D042002A 0002352B
	v_cmp_eq_f32_e64 s[44:45], v43, v27                        // 000000003C08: D042002C 0002372B
	v_cmp_eq_f32_e64 s[46:47], v43, v28                        // 000000003C10: D042002E 0002392B
	s_ff1_i32_b64 s56, s[40:41]                                // 000000003C18: BEB81128
	s_ff1_i32_b64 s57, s[42:43]                                // 000000003C1C: BEB9112A
	s_ff1_i32_b64 s58, s[44:45]                                // 000000003C20: BEBA112C
	s_ff1_i32_b64 s59, s[46:47]                                // 000000003C24: BEBB112E
	v_readlane_b32 s20, v41, 0                                 // 000000003C28: D2890014 00010129
	v_writelane_b32 v32, s20, 3                                // 000000003C30: D28A0020 00010614
	v_readlane_b32 s21, v42, 0                                 // 000000003C38: D2890015 0001012A
	v_writelane_b32 v33, s21, 3                                // 000000003C40: D28A0021 00010615
	v_readlane_b32 s22, v43, 0                                 // 000000003C48: D2890016 0001012B
	v_writelane_b32 v34, s22, 3                                // 000000003C50: D28A0022 00010616
	s_mov_b32 s22, s48                                         // 000000003C58: BE960030
	s_cmp_eq_u32 s48, -1                                       // 000000003C5C: BF06C130
	s_cselect_b32 s21, 1, 0                                    // 000000003C60: 85158081
	s_cbranch_scc0 label_082A                                  // 000000003C64: BF840010
	s_add_u32 s75, s21, s75                                    // 000000003C68: 804B4B15
	s_mov_b32 s22, s49                                         // 000000003C6C: BE960031
	s_cmp_eq_u32 s49, -1                                       // 000000003C70: BF06C131
	s_cselect_b32 s21, 1, 0                                    // 000000003C74: 85158081
	s_cbranch_scc0 label_082A                                  // 000000003C78: BF84000B
	s_add_u32 s75, s21, s75                                    // 000000003C7C: 804B4B15
	s_mov_b32 s22, s50                                         // 000000003C80: BE960032
	s_cmp_eq_u32 s50, -1                                       // 000000003C84: BF06C132
	s_cselect_b32 s21, 1, 0                                    // 000000003C88: 85158081
	s_cbranch_scc0 label_082A                                  // 000000003C8C: BF840006
	s_add_u32 s75, s21, s75                                    // 000000003C90: 804B4B15
	s_mov_b32 s22, s51                                         // 000000003C94: BE960033
	s_cmp_eq_u32 s51, -1                                       // 000000003C98: BF06C133
	s_cselect_b32 s21, 1, 0                                    // 000000003C9C: 85158081
	s_cbranch_scc0 label_082A                                  // 000000003CA0: BF840001
	s_add_u32 s75, s21, s75                                    // 000000003CA4: 804B4B15

0000000000003ca8 <label_082A>:
	s_set_gpr_idx_on s75, gpr_idx(DST)                         // 000000003CA8: BF11084B
	v_writelane_b32 v17, 0, s22                                // 000000003CAC: D28A0011 00002C80
	s_set_gpr_idx_off                                          // 000000003CB4: BF9C0000
	s_mul_i32 s75, 64, s75                                     // 000000003CB8: 924B4BC0
	s_add_u32 s75, s22, s75                                    // 000000003CBC: 804B4B16
	v_writelane_b32 v29, s75, 3                                // 000000003CC0: D28A001D 0001064B
	s_mov_b32 s22, s52                                         // 000000003CC8: BE960034
	s_cmp_eq_u32 s52, -1                                       // 000000003CCC: BF06C134
	s_cselect_b32 s21, 1, 0                                    // 000000003CD0: 85158081
	s_cbranch_scc0 label_0846                                  // 000000003CD4: BF840010
	s_add_u32 s81, s21, s81                                    // 000000003CD8: 80515115
	s_mov_b32 s22, s53                                         // 000000003CDC: BE960035
	s_cmp_eq_u32 s53, -1                                       // 000000003CE0: BF06C135
	s_cselect_b32 s21, 1, 0                                    // 000000003CE4: 85158081
	s_cbranch_scc0 label_0846                                  // 000000003CE8: BF84000B
	s_add_u32 s81, s21, s81                                    // 000000003CEC: 80515115
	s_mov_b32 s22, s54                                         // 000000003CF0: BE960036
	s_cmp_eq_u32 s54, -1                                       // 000000003CF4: BF06C136
	s_cselect_b32 s21, 1, 0                                    // 000000003CF8: 85158081
	s_cbranch_scc0 label_0846                                  // 000000003CFC: BF840006
	s_add_u32 s81, s21, s81                                    // 000000003D00: 80515115
	s_mov_b32 s22, s55                                         // 000000003D04: BE960037
	s_cmp_eq_u32 s55, -1                                       // 000000003D08: BF06C137
	s_cselect_b32 s21, 1, 0                                    // 000000003D0C: 85158081
	s_cbranch_scc0 label_0846                                  // 000000003D10: BF840001
	s_add_u32 s81, s21, s81                                    // 000000003D14: 80515115

0000000000003d18 <label_0846>:
	s_set_gpr_idx_on s81, gpr_idx(DST)                         // 000000003D18: BF110851
	v_writelane_b32 v21, 0, s22                                // 000000003D1C: D28A0015 00002C80
	s_set_gpr_idx_off                                          // 000000003D24: BF9C0000
	s_mul_i32 s81, 64, s81                                     // 000000003D28: 925151C0
	s_add_u32 s81, s22, s81                                    // 000000003D2C: 80515116
	v_writelane_b32 v30, s81, 3                                // 000000003D30: D28A001E 00010651
	s_mov_b32 s22, s56                                         // 000000003D38: BE960038
	s_cmp_eq_u32 s56, -1                                       // 000000003D3C: BF06C138
	s_cselect_b32 s21, 1, 0                                    // 000000003D40: 85158081
	s_cbranch_scc0 label_0862                                  // 000000003D44: BF840010
	s_add_u32 s87, s21, s87                                    // 000000003D48: 80575715
	s_mov_b32 s22, s57                                         // 000000003D4C: BE960039
	s_cmp_eq_u32 s57, -1                                       // 000000003D50: BF06C139
	s_cselect_b32 s21, 1, 0                                    // 000000003D54: 85158081
	s_cbranch_scc0 label_0862                                  // 000000003D58: BF84000B
	s_add_u32 s87, s21, s87                                    // 000000003D5C: 80575715
	s_mov_b32 s22, s58                                         // 000000003D60: BE96003A
	s_cmp_eq_u32 s58, -1                                       // 000000003D64: BF06C13A
	s_cselect_b32 s21, 1, 0                                    // 000000003D68: 85158081
	s_cbranch_scc0 label_0862                                  // 000000003D6C: BF840006
	s_add_u32 s87, s21, s87                                    // 000000003D70: 80575715
	s_mov_b32 s22, s59                                         // 000000003D74: BE96003B
	s_cmp_eq_u32 s59, -1                                       // 000000003D78: BF06C13B
	s_cselect_b32 s21, 1, 0                                    // 000000003D7C: 85158081
	s_cbranch_scc0 label_0862                                  // 000000003D80: BF840001
	s_add_u32 s87, s21, s87                                    // 000000003D84: 80575715

0000000000003d88 <label_0862>:
	s_set_gpr_idx_on s87, gpr_idx(DST)                         // 000000003D88: BF110857
	v_writelane_b32 v25, 0, s22                                // 000000003D8C: D28A0019 00002C80
	s_set_gpr_idx_off                                          // 000000003D94: BF9C0000
	s_mul_i32 s87, 64, s87                                     // 000000003D98: 925757C0
	s_add_u32 s87, s22, s87                                    // 000000003D9C: 80575716
	v_writelane_b32 v31, s87, 3                                // 000000003DA0: D28A001F 00010657
	v_max_f32_e32 v41, v17, v18                                // 000000003DA8: 16522511
	v_max3_f32 v41, v41, v19, v20                              // 000000003DAC: D1D30029 04522729
	v_max_f32_e32 v42, v21, v22                                // 000000003DB4: 16542D15
	v_max3_f32 v42, v42, v23, v24                              // 000000003DB8: D1D3002A 04622F2A
	v_max_f32_e32 v43, v25, v26                                // 000000003DC0: 16563519
	v_max3_f32 v43, v43, v27, v28                              // 000000003DC4: D1D3002B 0472372B
	v_max_f32_dpp v4, v41, v41 quad_perm:[1,0,3,2] row_mask:0xf bank_mask:0xf// 000000003DCC: 160852FA FF00B129
	v_max_f32_dpp v5, v42, v42 quad_perm:[1,0,3,2] row_mask:0xf bank_mask:0xf// 000000003DD4: 160A54FA FF00B12A
	v_max_f32_dpp v6, v43, v43 quad_perm:[1,0,3,2] row_mask:0xf bank_mask:0xf// 000000003DDC: 160C56FA FF00B12B
	v_max_f32_dpp v4, v4, v4 quad_perm:[2,3,0,1] row_mask:0xf bank_mask:0xf// 000000003DE4: 160808FA FF004E04
	v_max_f32_dpp v5, v5, v5 quad_perm:[2,3,0,1] row_mask:0xf bank_mask:0xf// 000000003DEC: 160A0AFA FF004E05
	v_max_f32_dpp v6, v6, v6 quad_perm:[2,3,0,1] row_mask:0xf bank_mask:0xf// 000000003DF4: 160C0CFA FF004E06
	v_max_f32_dpp v4, v4, v4 row_shr:4 row_mask:0xf bank_mask:0xf// 000000003DFC: 160808FA FF011404
	v_max_f32_dpp v5, v5, v5 row_shr:4 row_mask:0xf bank_mask:0xf// 000000003E04: 160A0AFA FF011405
	v_max_f32_dpp v6, v6, v6 row_shr:4 row_mask:0xf bank_mask:0xf// 000000003E0C: 160C0CFA FF011406
	v_max_f32_dpp v4, v4, v4 row_shr:8 row_mask:0xf bank_mask:0xf// 000000003E14: 160808FA FF011804
	v_max_f32_dpp v5, v5, v5 row_shr:8 row_mask:0xf bank_mask:0xf// 000000003E1C: 160A0AFA FF011805
	v_max_f32_dpp v6, v6, v6 row_shr:8 row_mask:0xf bank_mask:0xf// 000000003E24: 160C0CFA FF011806
	v_max_f32_dpp v4, v4, v4 row_bcast:15 row_mask:0xf bank_mask:0xf// 000000003E2C: 160808FA FF014204
	v_max_f32_dpp v5, v5, v5 row_bcast:15 row_mask:0xf bank_mask:0xf// 000000003E34: 160A0AFA FF014205
	v_max_f32_dpp v6, v6, v6 row_bcast:15 row_mask:0xf bank_mask:0xf// 000000003E3C: 160C0CFA FF014206
	v_max_f32_dpp v4, v4, v4 row_bcast:31 row_mask:0xf bank_mask:0xf// 000000003E44: 160808FA FF014304
	v_max_f32_dpp v5, v5, v5 row_bcast:31 row_mask:0xf bank_mask:0xf// 000000003E4C: 160A0AFA FF014305
	v_max_f32_dpp v6, v6, v6 row_bcast:31 row_mask:0xf bank_mask:0xf// 000000003E54: 160C0CFA FF014306
	v_readlane_b32 s20, v4, 63                                 // 000000003E5C: D2890014 00017F04
	v_mov_b32_e32 v41, s20                                     // 000000003E64: 7E520214
	v_readlane_b32 s21, v5, 63                                 // 000000003E68: D2890015 00017F05
	v_mov_b32_e32 v42, s21                                     // 000000003E70: 7E540215
	v_readlane_b32 s22, v6, 63                                 // 000000003E74: D2890016 00017F06
	v_mov_b32_e32 v43, s22                                     // 000000003E7C: 7E560216
	v_add_f32_e32 v47, v47, v41                                // 000000003E80: 025E532F
	v_add_f32_e32 v48, v48, v42                                // 000000003E84: 02605530
	v_add_f32_e32 v49, v49, v43                                // 000000003E88: 02625731
	v_cmp_eq_f32_e64 s[24:25], v41, v17                        // 000000003E8C: D0420018 00022329
	v_cmp_eq_f32_e64 s[26:27], v41, v18                        // 000000003E94: D042001A 00022529
	v_cmp_eq_f32_e64 s[28:29], v41, v19                        // 000000003E9C: D042001C 00022729
	v_cmp_eq_f32_e64 s[30:31], v41, v20                        // 000000003EA4: D042001E 00022929
	s_ff1_i32_b64 s48, s[24:25]                                // 000000003EAC: BEB01118
	s_ff1_i32_b64 s49, s[26:27]                                // 000000003EB0: BEB1111A
	s_ff1_i32_b64 s50, s[28:29]                                // 000000003EB4: BEB2111C
	s_ff1_i32_b64 s51, s[30:31]                                // 000000003EB8: BEB3111E
	v_cmp_eq_f32_e64 s[32:33], v42, v21                        // 000000003EBC: D0420020 00022B2A
	v_cmp_eq_f32_e64 s[34:35], v42, v22                        // 000000003EC4: D0420022 00022D2A
	v_cmp_eq_f32_e64 s[36:37], v42, v23                        // 000000003ECC: D0420024 00022F2A
	v_cmp_eq_f32_e64 s[38:39], v42, v24                        // 000000003ED4: D0420026 0002312A
	s_ff1_i32_b64 s52, s[32:33]                                // 000000003EDC: BEB41120
	s_ff1_i32_b64 s53, s[34:35]                                // 000000003EE0: BEB51122
	s_ff1_i32_b64 s54, s[36:37]                                // 000000003EE4: BEB61124
	s_ff1_i32_b64 s55, s[38:39]                                // 000000003EE8: BEB71126
	v_cmp_eq_f32_e64 s[40:41], v43, v25                        // 000000003EEC: D0420028 0002332B
	v_cmp_eq_f32_e64 s[42:43], v43, v26                        // 000000003EF4: D042002A 0002352B
	v_cmp_eq_f32_e64 s[44:45], v43, v27                        // 000000003EFC: D042002C 0002372B
	v_cmp_eq_f32_e64 s[46:47], v43, v28                        // 000000003F04: D042002E 0002392B
	s_ff1_i32_b64 s56, s[40:41]                                // 000000003F0C: BEB81128
	s_ff1_i32_b64 s57, s[42:43]                                // 000000003F10: BEB9112A
	s_ff1_i32_b64 s58, s[44:45]                                // 000000003F14: BEBA112C
	s_ff1_i32_b64 s59, s[46:47]                                // 000000003F18: BEBB112E
	v_readlane_b32 s20, v41, 0                                 // 000000003F1C: D2890014 00010129
	v_writelane_b32 v32, s20, 4                                // 000000003F24: D28A0020 00010814
	v_readlane_b32 s21, v42, 0                                 // 000000003F2C: D2890015 0001012A
	v_writelane_b32 v33, s21, 4                                // 000000003F34: D28A0021 00010815
	v_readlane_b32 s22, v43, 0                                 // 000000003F3C: D2890016 0001012B
	v_writelane_b32 v34, s22, 4                                // 000000003F44: D28A0022 00010816
	s_mov_b32 s22, s48                                         // 000000003F4C: BE960030
	s_cmp_eq_u32 s48, -1                                       // 000000003F50: BF06C130
	s_cselect_b32 s21, 1, 0                                    // 000000003F54: 85158081
	s_cbranch_scc0 label_08E7                                  // 000000003F58: BF840010
	s_add_u32 s76, s21, s76                                    // 000000003F5C: 804C4C15
	s_mov_b32 s22, s49                                         // 000000003F60: BE960031
	s_cmp_eq_u32 s49, -1                                       // 000000003F64: BF06C131
	s_cselect_b32 s21, 1, 0                                    // 000000003F68: 85158081
	s_cbranch_scc0 label_08E7                                  // 000000003F6C: BF84000B
	s_add_u32 s76, s21, s76                                    // 000000003F70: 804C4C15
	s_mov_b32 s22, s50                                         // 000000003F74: BE960032
	s_cmp_eq_u32 s50, -1                                       // 000000003F78: BF06C132
	s_cselect_b32 s21, 1, 0                                    // 000000003F7C: 85158081
	s_cbranch_scc0 label_08E7                                  // 000000003F80: BF840006
	s_add_u32 s76, s21, s76                                    // 000000003F84: 804C4C15
	s_mov_b32 s22, s51                                         // 000000003F88: BE960033
	s_cmp_eq_u32 s51, -1                                       // 000000003F8C: BF06C133
	s_cselect_b32 s21, 1, 0                                    // 000000003F90: 85158081
	s_cbranch_scc0 label_08E7                                  // 000000003F94: BF840001
	s_add_u32 s76, s21, s76                                    // 000000003F98: 804C4C15

0000000000003f9c <label_08E7>:
	s_set_gpr_idx_on s76, gpr_idx(DST)                         // 000000003F9C: BF11084C
	v_writelane_b32 v17, 0, s22                                // 000000003FA0: D28A0011 00002C80
	s_set_gpr_idx_off                                          // 000000003FA8: BF9C0000
	s_mul_i32 s76, 64, s76                                     // 000000003FAC: 924C4CC0
	s_add_u32 s76, s22, s76                                    // 000000003FB0: 804C4C16
	v_writelane_b32 v29, s76, 4                                // 000000003FB4: D28A001D 0001084C
	s_mov_b32 s22, s52                                         // 000000003FBC: BE960034
	s_cmp_eq_u32 s52, -1                                       // 000000003FC0: BF06C134
	s_cselect_b32 s21, 1, 0                                    // 000000003FC4: 85158081
	s_cbranch_scc0 label_0903                                  // 000000003FC8: BF840010
	s_add_u32 s82, s21, s82                                    // 000000003FCC: 80525215
	s_mov_b32 s22, s53                                         // 000000003FD0: BE960035
	s_cmp_eq_u32 s53, -1                                       // 000000003FD4: BF06C135
	s_cselect_b32 s21, 1, 0                                    // 000000003FD8: 85158081
	s_cbranch_scc0 label_0903                                  // 000000003FDC: BF84000B
	s_add_u32 s82, s21, s82                                    // 000000003FE0: 80525215
	s_mov_b32 s22, s54                                         // 000000003FE4: BE960036
	s_cmp_eq_u32 s54, -1                                       // 000000003FE8: BF06C136
	s_cselect_b32 s21, 1, 0                                    // 000000003FEC: 85158081
	s_cbranch_scc0 label_0903                                  // 000000003FF0: BF840006
	s_add_u32 s82, s21, s82                                    // 000000003FF4: 80525215
	s_mov_b32 s22, s55                                         // 000000003FF8: BE960037
	s_cmp_eq_u32 s55, -1                                       // 000000003FFC: BF06C137
	s_cselect_b32 s21, 1, 0                                    // 000000004000: 85158081
	s_cbranch_scc0 label_0903                                  // 000000004004: BF840001
	s_add_u32 s82, s21, s82                                    // 000000004008: 80525215

000000000000400c <label_0903>:
	s_set_gpr_idx_on s82, gpr_idx(DST)                         // 00000000400C: BF110852
	v_writelane_b32 v21, 0, s22                                // 000000004010: D28A0015 00002C80
	s_set_gpr_idx_off                                          // 000000004018: BF9C0000
	s_mul_i32 s82, 64, s82                                     // 00000000401C: 925252C0
	s_add_u32 s82, s22, s82                                    // 000000004020: 80525216
	v_writelane_b32 v30, s82, 4                                // 000000004024: D28A001E 00010852
	s_mov_b32 s22, s56                                         // 00000000402C: BE960038
	s_cmp_eq_u32 s56, -1                                       // 000000004030: BF06C138
	s_cselect_b32 s21, 1, 0                                    // 000000004034: 85158081
	s_cbranch_scc0 label_091F                                  // 000000004038: BF840010
	s_add_u32 s88, s21, s88                                    // 00000000403C: 80585815
	s_mov_b32 s22, s57                                         // 000000004040: BE960039
	s_cmp_eq_u32 s57, -1                                       // 000000004044: BF06C139
	s_cselect_b32 s21, 1, 0                                    // 000000004048: 85158081
	s_cbranch_scc0 label_091F                                  // 00000000404C: BF84000B
	s_add_u32 s88, s21, s88                                    // 000000004050: 80585815
	s_mov_b32 s22, s58                                         // 000000004054: BE96003A
	s_cmp_eq_u32 s58, -1                                       // 000000004058: BF06C13A
	s_cselect_b32 s21, 1, 0                                    // 00000000405C: 85158081
	s_cbranch_scc0 label_091F                                  // 000000004060: BF840006
	s_add_u32 s88, s21, s88                                    // 000000004064: 80585815
	s_mov_b32 s22, s59                                         // 000000004068: BE96003B
	s_cmp_eq_u32 s59, -1                                       // 00000000406C: BF06C13B
	s_cselect_b32 s21, 1, 0                                    // 000000004070: 85158081
	s_cbranch_scc0 label_091F                                  // 000000004074: BF840001
	s_add_u32 s88, s21, s88                                    // 000000004078: 80585815

000000000000407c <label_091F>:
	s_set_gpr_idx_on s88, gpr_idx(DST)                         // 00000000407C: BF110858
	v_writelane_b32 v25, 0, s22                                // 000000004080: D28A0019 00002C80
	s_set_gpr_idx_off                                          // 000000004088: BF9C0000
	s_mul_i32 s88, 64, s88                                     // 00000000408C: 925858C0
	s_add_u32 s88, s22, s88                                    // 000000004090: 80585816
	v_writelane_b32 v31, s88, 4                                // 000000004094: D28A001F 00010858
	v_max_f32_e32 v41, v17, v18                                // 00000000409C: 16522511
	v_max3_f32 v41, v41, v19, v20                              // 0000000040A0: D1D30029 04522729
	v_max_f32_e32 v42, v21, v22                                // 0000000040A8: 16542D15
	v_max3_f32 v42, v42, v23, v24                              // 0000000040AC: D1D3002A 04622F2A
	v_max_f32_e32 v43, v25, v26                                // 0000000040B4: 16563519
	v_max3_f32 v43, v43, v27, v28                              // 0000000040B8: D1D3002B 0472372B
	v_max_f32_dpp v4, v41, v41 quad_perm:[1,0,3,2] row_mask:0xf bank_mask:0xf// 0000000040C0: 160852FA FF00B129
	v_max_f32_dpp v5, v42, v42 quad_perm:[1,0,3,2] row_mask:0xf bank_mask:0xf// 0000000040C8: 160A54FA FF00B12A
	v_max_f32_dpp v6, v43, v43 quad_perm:[1,0,3,2] row_mask:0xf bank_mask:0xf// 0000000040D0: 160C56FA FF00B12B
	v_max_f32_dpp v4, v4, v4 quad_perm:[2,3,0,1] row_mask:0xf bank_mask:0xf// 0000000040D8: 160808FA FF004E04
	v_max_f32_dpp v5, v5, v5 quad_perm:[2,3,0,1] row_mask:0xf bank_mask:0xf// 0000000040E0: 160A0AFA FF004E05
	v_max_f32_dpp v6, v6, v6 quad_perm:[2,3,0,1] row_mask:0xf bank_mask:0xf// 0000000040E8: 160C0CFA FF004E06
	v_max_f32_dpp v4, v4, v4 row_shr:4 row_mask:0xf bank_mask:0xf// 0000000040F0: 160808FA FF011404
	v_max_f32_dpp v5, v5, v5 row_shr:4 row_mask:0xf bank_mask:0xf// 0000000040F8: 160A0AFA FF011405
	v_max_f32_dpp v6, v6, v6 row_shr:4 row_mask:0xf bank_mask:0xf// 000000004100: 160C0CFA FF011406
	v_max_f32_dpp v4, v4, v4 row_shr:8 row_mask:0xf bank_mask:0xf// 000000004108: 160808FA FF011804
	v_max_f32_dpp v5, v5, v5 row_shr:8 row_mask:0xf bank_mask:0xf// 000000004110: 160A0AFA FF011805
	v_max_f32_dpp v6, v6, v6 row_shr:8 row_mask:0xf bank_mask:0xf// 000000004118: 160C0CFA FF011806
	v_max_f32_dpp v4, v4, v4 row_bcast:15 row_mask:0xf bank_mask:0xf// 000000004120: 160808FA FF014204
	v_max_f32_dpp v5, v5, v5 row_bcast:15 row_mask:0xf bank_mask:0xf// 000000004128: 160A0AFA FF014205
	v_max_f32_dpp v6, v6, v6 row_bcast:15 row_mask:0xf bank_mask:0xf// 000000004130: 160C0CFA FF014206
	v_max_f32_dpp v4, v4, v4 row_bcast:31 row_mask:0xf bank_mask:0xf// 000000004138: 160808FA FF014304
	v_max_f32_dpp v5, v5, v5 row_bcast:31 row_mask:0xf bank_mask:0xf// 000000004140: 160A0AFA FF014305
	v_max_f32_dpp v6, v6, v6 row_bcast:31 row_mask:0xf bank_mask:0xf// 000000004148: 160C0CFA FF014306
	v_readlane_b32 s20, v4, 63                                 // 000000004150: D2890014 00017F04
	v_mov_b32_e32 v41, s20                                     // 000000004158: 7E520214
	v_readlane_b32 s21, v5, 63                                 // 00000000415C: D2890015 00017F05
	v_mov_b32_e32 v42, s21                                     // 000000004164: 7E540215
	v_readlane_b32 s22, v6, 63                                 // 000000004168: D2890016 00017F06
	v_mov_b32_e32 v43, s22                                     // 000000004170: 7E560216
	v_add_f32_e32 v47, v47, v41                                // 000000004174: 025E532F
	v_add_f32_e32 v48, v48, v42                                // 000000004178: 02605530
	v_add_f32_e32 v49, v49, v43                                // 00000000417C: 02625731
	v_cmp_eq_f32_e64 s[24:25], v41, v17                        // 000000004180: D0420018 00022329
	v_cmp_eq_f32_e64 s[26:27], v41, v18                        // 000000004188: D042001A 00022529
	v_cmp_eq_f32_e64 s[28:29], v41, v19                        // 000000004190: D042001C 00022729
	v_cmp_eq_f32_e64 s[30:31], v41, v20                        // 000000004198: D042001E 00022929
	s_ff1_i32_b64 s48, s[24:25]                                // 0000000041A0: BEB01118
	s_ff1_i32_b64 s49, s[26:27]                                // 0000000041A4: BEB1111A
	s_ff1_i32_b64 s50, s[28:29]                                // 0000000041A8: BEB2111C
	s_ff1_i32_b64 s51, s[30:31]                                // 0000000041AC: BEB3111E
	v_cmp_eq_f32_e64 s[32:33], v42, v21                        // 0000000041B0: D0420020 00022B2A
	v_cmp_eq_f32_e64 s[34:35], v42, v22                        // 0000000041B8: D0420022 00022D2A
	v_cmp_eq_f32_e64 s[36:37], v42, v23                        // 0000000041C0: D0420024 00022F2A
	v_cmp_eq_f32_e64 s[38:39], v42, v24                        // 0000000041C8: D0420026 0002312A
	s_ff1_i32_b64 s52, s[32:33]                                // 0000000041D0: BEB41120
	s_ff1_i32_b64 s53, s[34:35]                                // 0000000041D4: BEB51122
	s_ff1_i32_b64 s54, s[36:37]                                // 0000000041D8: BEB61124
	s_ff1_i32_b64 s55, s[38:39]                                // 0000000041DC: BEB71126
	v_cmp_eq_f32_e64 s[40:41], v43, v25                        // 0000000041E0: D0420028 0002332B
	v_cmp_eq_f32_e64 s[42:43], v43, v26                        // 0000000041E8: D042002A 0002352B
	v_cmp_eq_f32_e64 s[44:45], v43, v27                        // 0000000041F0: D042002C 0002372B
	v_cmp_eq_f32_e64 s[46:47], v43, v28                        // 0000000041F8: D042002E 0002392B
	s_ff1_i32_b64 s56, s[40:41]                                // 000000004200: BEB81128
	s_ff1_i32_b64 s57, s[42:43]                                // 000000004204: BEB9112A
	s_ff1_i32_b64 s58, s[44:45]                                // 000000004208: BEBA112C
	s_ff1_i32_b64 s59, s[46:47]                                // 00000000420C: BEBB112E
	v_readlane_b32 s20, v41, 0                                 // 000000004210: D2890014 00010129
	v_writelane_b32 v32, s20, 5                                // 000000004218: D28A0020 00010A14
	v_readlane_b32 s21, v42, 0                                 // 000000004220: D2890015 0001012A
	v_writelane_b32 v33, s21, 5                                // 000000004228: D28A0021 00010A15
	v_readlane_b32 s22, v43, 0                                 // 000000004230: D2890016 0001012B
	v_writelane_b32 v34, s22, 5                                // 000000004238: D28A0022 00010A16
	s_mov_b32 s22, s48                                         // 000000004240: BE960030
	s_cmp_eq_u32 s48, -1                                       // 000000004244: BF06C130
	s_cselect_b32 s21, 1, 0                                    // 000000004248: 85158081
	s_cbranch_scc0 label_09A4                                  // 00000000424C: BF840010
	s_add_u32 s77, s21, s77                                    // 000000004250: 804D4D15
	s_mov_b32 s22, s49                                         // 000000004254: BE960031
	s_cmp_eq_u32 s49, -1                                       // 000000004258: BF06C131
	s_cselect_b32 s21, 1, 0                                    // 00000000425C: 85158081
	s_cbranch_scc0 label_09A4                                  // 000000004260: BF84000B
	s_add_u32 s77, s21, s77                                    // 000000004264: 804D4D15
	s_mov_b32 s22, s50                                         // 000000004268: BE960032
	s_cmp_eq_u32 s50, -1                                       // 00000000426C: BF06C132
	s_cselect_b32 s21, 1, 0                                    // 000000004270: 85158081
	s_cbranch_scc0 label_09A4                                  // 000000004274: BF840006
	s_add_u32 s77, s21, s77                                    // 000000004278: 804D4D15
	s_mov_b32 s22, s51                                         // 00000000427C: BE960033
	s_cmp_eq_u32 s51, -1                                       // 000000004280: BF06C133
	s_cselect_b32 s21, 1, 0                                    // 000000004284: 85158081
	s_cbranch_scc0 label_09A4                                  // 000000004288: BF840001
	s_add_u32 s77, s21, s77                                    // 00000000428C: 804D4D15

0000000000004290 <label_09A4>:
	s_set_gpr_idx_on s77, gpr_idx(DST)                         // 000000004290: BF11084D
	v_writelane_b32 v17, 0, s22                                // 000000004294: D28A0011 00002C80
	s_set_gpr_idx_off                                          // 00000000429C: BF9C0000
	s_mul_i32 s77, 64, s77                                     // 0000000042A0: 924D4DC0
	s_add_u32 s77, s22, s77                                    // 0000000042A4: 804D4D16
	v_writelane_b32 v29, s77, 5                                // 0000000042A8: D28A001D 00010A4D
	s_mov_b32 s22, s52                                         // 0000000042B0: BE960034
	s_cmp_eq_u32 s52, -1                                       // 0000000042B4: BF06C134
	s_cselect_b32 s21, 1, 0                                    // 0000000042B8: 85158081
	s_cbranch_scc0 label_09C0                                  // 0000000042BC: BF840010
	s_add_u32 s83, s21, s83                                    // 0000000042C0: 80535315
	s_mov_b32 s22, s53                                         // 0000000042C4: BE960035
	s_cmp_eq_u32 s53, -1                                       // 0000000042C8: BF06C135
	s_cselect_b32 s21, 1, 0                                    // 0000000042CC: 85158081
	s_cbranch_scc0 label_09C0                                  // 0000000042D0: BF84000B
	s_add_u32 s83, s21, s83                                    // 0000000042D4: 80535315
	s_mov_b32 s22, s54                                         // 0000000042D8: BE960036
	s_cmp_eq_u32 s54, -1                                       // 0000000042DC: BF06C136
	s_cselect_b32 s21, 1, 0                                    // 0000000042E0: 85158081
	s_cbranch_scc0 label_09C0                                  // 0000000042E4: BF840006
	s_add_u32 s83, s21, s83                                    // 0000000042E8: 80535315
	s_mov_b32 s22, s55                                         // 0000000042EC: BE960037
	s_cmp_eq_u32 s55, -1                                       // 0000000042F0: BF06C137
	s_cselect_b32 s21, 1, 0                                    // 0000000042F4: 85158081
	s_cbranch_scc0 label_09C0                                  // 0000000042F8: BF840001
	s_add_u32 s83, s21, s83                                    // 0000000042FC: 80535315

0000000000004300 <label_09C0>:
	s_set_gpr_idx_on s83, gpr_idx(DST)                         // 000000004300: BF110853
	v_writelane_b32 v21, 0, s22                                // 000000004304: D28A0015 00002C80
	s_set_gpr_idx_off                                          // 00000000430C: BF9C0000
	s_mul_i32 s83, 64, s83                                     // 000000004310: 925353C0
	s_add_u32 s83, s22, s83                                    // 000000004314: 80535316
	v_writelane_b32 v30, s83, 5                                // 000000004318: D28A001E 00010A53
	s_mov_b32 s22, s56                                         // 000000004320: BE960038
	s_cmp_eq_u32 s56, -1                                       // 000000004324: BF06C138
	s_cselect_b32 s21, 1, 0                                    // 000000004328: 85158081
	s_cbranch_scc0 label_09DC                                  // 00000000432C: BF840010
	s_add_u32 s89, s21, s89                                    // 000000004330: 80595915
	s_mov_b32 s22, s57                                         // 000000004334: BE960039
	s_cmp_eq_u32 s57, -1                                       // 000000004338: BF06C139
	s_cselect_b32 s21, 1, 0                                    // 00000000433C: 85158081
	s_cbranch_scc0 label_09DC                                  // 000000004340: BF84000B
	s_add_u32 s89, s21, s89                                    // 000000004344: 80595915
	s_mov_b32 s22, s58                                         // 000000004348: BE96003A
	s_cmp_eq_u32 s58, -1                                       // 00000000434C: BF06C13A
	s_cselect_b32 s21, 1, 0                                    // 000000004350: 85158081
	s_cbranch_scc0 label_09DC                                  // 000000004354: BF840006
	s_add_u32 s89, s21, s89                                    // 000000004358: 80595915
	s_mov_b32 s22, s59                                         // 00000000435C: BE96003B
	s_cmp_eq_u32 s59, -1                                       // 000000004360: BF06C13B
	s_cselect_b32 s21, 1, 0                                    // 000000004364: 85158081
	s_cbranch_scc0 label_09DC                                  // 000000004368: BF840001
	s_add_u32 s89, s21, s89                                    // 00000000436C: 80595915

0000000000004370 <label_09DC>:
	s_set_gpr_idx_on s89, gpr_idx(DST)                         // 000000004370: BF110859
	v_writelane_b32 v25, 0, s22                                // 000000004374: D28A0019 00002C80
	s_set_gpr_idx_off                                          // 00000000437C: BF9C0000
	s_mul_i32 s89, 64, s89                                     // 000000004380: 925959C0
	s_add_u32 s89, s22, s89                                    // 000000004384: 80595916
	v_writelane_b32 v31, s89, 5                                // 000000004388: D28A001F 00010A59
	s_bfm_b64 exec, s18, 0                                     // 000000004390: 91FE8012
	buffer_store_dword v29, v11, s[4:7], 0 offen               // 000000004394: E0701000 80011D0B
	buffer_store_dword v30, v12, s[4:7], 0 offen               // 00000000439C: E0701000 80011E0C
	buffer_store_dword v31, v13, s[4:7], 0 offen               // 0000000043A4: E0701000 80011F0D
	v_rcp_f32_e32 v47, v47                                     // 0000000043AC: 7E5E452F
	v_rcp_f32_e32 v48, v48                                     // 0000000043B0: 7E604530
	v_rcp_f32_e32 v49, v49                                     // 0000000043B4: 7E624531
	v_mul_f32_e32 v32, v32, v47                                // 0000000043B8: 0A405F20
	v_mul_f32_e32 v33, v33, v48                                // 0000000043BC: 0A426121
	v_mul_f32_e32 v34, v34, v49                                // 0000000043C0: 0A446322
	buffer_store_dword v32, v14, s[8:11], 0 offen              // 0000000043C4: E0701000 8002200E
	buffer_store_dword v33, v15, s[8:11], 0 offen              // 0000000043CC: E0701000 8002210F
	buffer_store_dword v34, v16, s[8:11], 0 offen              // 0000000043D4: E0701000 80022210

00000000000043dc <label_09F7>:
	s_waitcnt vmcnt(0) expcnt(0) lgkmcnt(0)                    // 0000000043DC: BF8C0000
	s_endpgm                                                   // 0000000043E0: BF810000
